;; amdgpu-corpus repo=ROCm/rocFFT kind=compiled arch=gfx1030 opt=O3
	.text
	.amdgcn_target "amdgcn-amd-amdhsa--gfx1030"
	.amdhsa_code_object_version 6
	.protected	fft_rtc_fwd_len224_factors_4_7_2_2_2_wgs_196_tpt_14_dim3_sp_ip_CI_sbcc_twdbase8_2step_dirReg ; -- Begin function fft_rtc_fwd_len224_factors_4_7_2_2_2_wgs_196_tpt_14_dim3_sp_ip_CI_sbcc_twdbase8_2step_dirReg
	.globl	fft_rtc_fwd_len224_factors_4_7_2_2_2_wgs_196_tpt_14_dim3_sp_ip_CI_sbcc_twdbase8_2step_dirReg
	.p2align	8
	.type	fft_rtc_fwd_len224_factors_4_7_2_2_2_wgs_196_tpt_14_dim3_sp_ip_CI_sbcc_twdbase8_2step_dirReg,@function
fft_rtc_fwd_len224_factors_4_7_2_2_2_wgs_196_tpt_14_dim3_sp_ip_CI_sbcc_twdbase8_2step_dirReg: ; @fft_rtc_fwd_len224_factors_4_7_2_2_2_wgs_196_tpt_14_dim3_sp_ip_CI_sbcc_twdbase8_2step_dirReg
; %bb.0:
	s_load_dwordx4 s[0:3], s[4:5], 0x10
	s_waitcnt lgkmcnt(0)
	s_load_dwordx2 s[14:15], s[0:1], 0x8
	s_waitcnt lgkmcnt(0)
	s_add_u32 s7, s14, -1
	s_addc_u32 s8, s15, -1
	s_add_u32 s9, 0, 0x49240800
	s_addc_u32 s10, 0, 50
	s_mul_hi_u32 s12, s9, -14
	s_add_i32 s10, s10, 0x12492460
	s_sub_i32 s12, s12, s9
	s_mul_i32 s16, s10, -14
	s_mul_i32 s11, s9, -14
	s_add_i32 s12, s12, s16
	s_mul_hi_u32 s13, s9, s11
	s_mul_i32 s18, s9, s12
	s_mul_hi_u32 s16, s9, s12
	s_mul_hi_u32 s17, s10, s11
	s_mul_i32 s11, s10, s11
	s_add_u32 s13, s13, s18
	s_addc_u32 s16, 0, s16
	s_mul_hi_u32 s19, s10, s12
	s_add_u32 s11, s13, s11
	s_mul_i32 s12, s10, s12
	s_addc_u32 s11, s16, s17
	s_addc_u32 s13, s19, 0
	s_add_u32 s11, s11, s12
	v_add_co_u32 v1, s9, s9, s11
	s_addc_u32 s11, 0, s13
	s_cmp_lg_u32 s9, 0
	s_addc_u32 s9, s10, s11
	v_readfirstlane_b32 s10, v1
	s_mul_i32 s12, s7, s9
	s_mul_hi_u32 s11, s7, s9
	s_mul_hi_u32 s13, s8, s9
	s_mul_i32 s9, s8, s9
	s_mul_hi_u32 s16, s7, s10
	s_mul_hi_u32 s17, s8, s10
	s_mul_i32 s10, s8, s10
	s_add_u32 s12, s16, s12
	s_addc_u32 s11, 0, s11
	s_add_u32 s10, s12, s10
	s_addc_u32 s10, s11, s17
	s_addc_u32 s11, s13, 0
	s_add_u32 s9, s10, s9
	s_addc_u32 s10, 0, s11
	s_mul_i32 s12, s9, 14
	s_add_u32 s11, s9, 1
	v_sub_co_u32 v1, s7, s7, s12
	s_mul_hi_u32 s12, s9, 14
	s_addc_u32 s13, s10, 0
	s_mul_i32 s16, s10, 14
	v_sub_co_u32 v2, s17, v1, 14
	s_add_u32 s18, s9, 2
	s_addc_u32 s19, s10, 0
	s_add_i32 s12, s12, s16
	s_cmp_lg_u32 s7, 0
	v_readfirstlane_b32 s7, v2
	s_subb_u32 s8, s8, s12
	s_cmp_lg_u32 s17, 0
	s_subb_u32 s12, s8, 0
	s_cmp_gt_u32 s7, 13
	s_cselect_b32 s7, -1, 0
	s_cmp_eq_u32 s12, 0
	v_readfirstlane_b32 s12, v1
	s_cselect_b32 s7, s7, -1
	s_cmp_lg_u32 s7, 0
	s_cselect_b32 s11, s18, s11
	s_cselect_b32 s13, s19, s13
	s_cmp_gt_u32 s12, 13
	s_mov_b64 s[18:19], 0
	s_cselect_b32 s7, -1, 0
	s_cmp_eq_u32 s8, 0
	s_cselect_b32 s7, s7, -1
	s_cmp_lg_u32 s7, 0
	s_mov_b32 s7, 0
	s_cselect_b32 s8, s11, s9
	s_cselect_b32 s9, s13, s10
	s_add_u32 s16, s8, 1
	s_addc_u32 s17, s9, 0
	v_cmp_lt_u64_e64 s8, s[6:7], s[16:17]
	s_and_b32 vcc_lo, exec_lo, s8
	s_cbranch_vccnz .LBB0_2
; %bb.1:
	v_cvt_f32_u32_e32 v1, s16
	s_sub_i32 s9, 0, s16
	s_mov_b32 s19, s7
	v_rcp_iflag_f32_e32 v1, v1
	v_mul_f32_e32 v1, 0x4f7ffffe, v1
	v_cvt_u32_f32_e32 v1, v1
	v_readfirstlane_b32 s8, v1
	s_mul_i32 s9, s9, s8
	s_mul_hi_u32 s9, s8, s9
	s_add_i32 s8, s8, s9
	s_mul_hi_u32 s8, s6, s8
	s_mul_i32 s9, s8, s16
	s_add_i32 s10, s8, 1
	s_sub_i32 s9, s6, s9
	s_sub_i32 s11, s9, s16
	s_cmp_ge_u32 s9, s16
	s_cselect_b32 s8, s10, s8
	s_cselect_b32 s9, s11, s9
	s_add_i32 s10, s8, 1
	s_cmp_ge_u32 s9, s16
	s_cselect_b32 s18, s10, s8
.LBB0_2:
	s_load_dwordx2 s[22:23], s[0:1], 0x10
	s_load_dwordx2 s[12:13], s[2:3], 0x8
	s_waitcnt lgkmcnt(0)
	v_cmp_lt_u64_e64 s0, s[18:19], s[22:23]
	s_and_b32 vcc_lo, exec_lo, s0
	s_mov_b64 s[0:1], s[18:19]
	s_cbranch_vccnz .LBB0_4
; %bb.3:
	v_cvt_f32_u32_e32 v1, s22
	s_sub_i32 s1, 0, s22
	v_rcp_iflag_f32_e32 v1, v1
	v_mul_f32_e32 v1, 0x4f7ffffe, v1
	v_cvt_u32_f32_e32 v1, v1
	v_readfirstlane_b32 s0, v1
	s_mul_i32 s1, s1, s0
	s_mul_hi_u32 s1, s0, s1
	s_add_i32 s0, s0, s1
	s_mul_hi_u32 s0, s18, s0
	s_mul_i32 s0, s0, s22
	s_sub_i32 s0, s18, s0
	s_sub_i32 s1, s0, s22
	s_cmp_ge_u32 s0, s22
	s_cselect_b32 s0, s1, s0
	s_sub_i32 s1, s0, s22
	s_cmp_ge_u32 s0, s22
	s_cselect_b32 s0, s1, s0
.LBB0_4:
	s_load_dwordx2 s[10:11], s[4:5], 0x50
	s_clause 0x1
	s_load_dwordx2 s[8:9], s[2:3], 0x0
	s_load_dwordx2 s[20:21], s[2:3], 0x10
	s_mul_i32 s1, s22, s17
	s_mul_hi_u32 s19, s22, s16
	s_mul_i32 s24, s22, s16
	s_add_i32 s1, s19, s1
	s_mul_i32 s19, s23, s16
	s_mov_b64 s[22:23], 0
	s_add_i32 s25, s1, s19
	v_cmp_lt_u64_e64 s1, s[6:7], s[24:25]
	s_and_b32 vcc_lo, exec_lo, s1
	s_cbranch_vccnz .LBB0_6
; %bb.5:
	v_cvt_f32_u32_e32 v1, s24
	s_sub_i32 s7, 0, s24
	v_rcp_iflag_f32_e32 v1, v1
	v_mul_f32_e32 v1, 0x4f7ffffe, v1
	v_cvt_u32_f32_e32 v1, v1
	v_readfirstlane_b32 s1, v1
	s_mul_i32 s7, s7, s1
	s_mul_hi_u32 s7, s1, s7
	s_add_i32 s1, s1, s7
	s_mul_hi_u32 s1, s6, s1
	s_mul_i32 s7, s1, s24
	s_add_i32 s19, s1, 1
	s_sub_i32 s7, s6, s7
	s_sub_i32 s22, s7, s24
	s_cmp_ge_u32 s7, s24
	s_cselect_b32 s1, s19, s1
	s_cselect_b32 s7, s22, s7
	s_add_i32 s19, s1, 1
	s_cmp_ge_u32 s7, s24
	s_cselect_b32 s22, s19, s1
.LBB0_6:
	s_load_dwordx2 s[2:3], s[2:3], 0x18
	s_mul_i32 s1, s18, s17
	s_mul_hi_u32 s7, s18, s16
	v_mul_u32_u24_e32 v1, 0x124a, v0
	s_mul_i32 s16, s18, s16
	s_add_i32 s7, s7, s1
	s_sub_u32 s1, s6, s16
	s_subb_u32 s6, 0, s7
	v_lshrrev_b32_e32 v60, 16, v1
	s_mul_i32 s6, s6, 14
	s_mul_hi_u32 s7, s1, 14
	s_mul_i32 s17, s1, 14
	s_add_i32 s16, s7, s6
	s_mul_hi_u32 s6, s12, s17
	s_mul_i32 s1, s12, s16
	v_mul_lo_u16 v1, v60, 14
	s_add_i32 s1, s6, s1
	s_mul_i32 s6, s13, s17
	s_waitcnt lgkmcnt(0)
	s_mul_hi_u32 s7, s20, s0
	s_add_i32 s1, s1, s6
	s_mul_i32 s6, s21, s0
	s_mul_i32 s18, s12, s17
	;; [unrolled: 1-line block ×3, first 2 shown]
	v_sub_nc_u16 v50, v0, v1
	s_add_i32 s7, s7, s6
	s_mul_i32 s3, s3, s22
	s_mul_hi_u32 s6, s2, s22
	s_add_u32 s0, s0, s18
	s_mul_i32 s2, s2, s22
	s_addc_u32 s1, s7, s1
	s_add_i32 s3, s6, s3
	s_add_u32 s6, s2, s0
	s_addc_u32 s7, s3, s1
	v_and_b32_e32 v61, 0xffff, v50
	s_add_u32 s0, s17, 14
	s_addc_u32 s1, s16, 0
	v_cmp_gt_u64_e64 s2, s[0:1], s[14:15]
	v_add_co_u32 v51, s3, s17, v61
	v_cmp_le_u64_e64 s18, s[0:1], s[14:15]
	v_add_co_ci_u32_e64 v52, null, s16, 0, s3
	s_and_b32 vcc_lo, exec_lo, s2
	s_cbranch_vccz .LBB0_12
; %bb.7:
	s_mov_b32 s0, exec_lo
                                        ; implicit-def: $vgpr49
                                        ; implicit-def: $vgpr53
                                        ; implicit-def: $vgpr65
	v_cmpx_le_u64_e64 s[14:15], v[51:52]
	s_xor_b32 s0, exec_lo, s0
; %bb.8:
	v_add_nc_u32_e32 v49, 14, v60
	v_add_nc_u32_e32 v53, 28, v60
	;; [unrolled: 1-line block ×3, first 2 shown]
; %bb.9:
	s_or_saveexec_b32 s0, s0
                                        ; implicit-def: $vgpr1
                                        ; implicit-def: $vgpr23
                                        ; implicit-def: $vgpr21
                                        ; implicit-def: $vgpr17
                                        ; implicit-def: $vgpr19
                                        ; implicit-def: $vgpr29
                                        ; implicit-def: $vgpr31
                                        ; implicit-def: $vgpr25
                                        ; implicit-def: $vgpr27
                                        ; implicit-def: $vgpr13
                                        ; implicit-def: $vgpr15
                                        ; implicit-def: $vgpr9
                                        ; implicit-def: $vgpr11
                                        ; implicit-def: $vgpr7
                                        ; implicit-def: $vgpr3
                                        ; implicit-def: $vgpr5
	s_xor_b32 exec_lo, exec_lo, s0
	s_cbranch_execz .LBB0_11
; %bb.10:
	v_mad_u64_u32 v[1:2], null, s12, v61, 0
	v_mad_u64_u32 v[3:4], null, s8, v60, 0
	v_add_nc_u32_e32 v12, 56, v60
	v_add_nc_u32_e32 v14, 0x70, v60
	s_lshl_b64 s[2:3], s[6:7], 3
	v_add_nc_u32_e32 v15, 0xa8, v60
	s_add_u32 s1, s10, s2
	s_addc_u32 s2, s11, s3
	v_mad_u64_u32 v[5:6], null, s13, v61, v[2:3]
	v_mad_u64_u32 v[6:7], null, s8, v12, 0
	;; [unrolled: 1-line block ×4, first 2 shown]
	v_mov_b32_e32 v2, v5
	v_mad_u64_u32 v[4:5], null, s9, v60, v[4:5]
	v_mov_b32_e32 v5, v7
	v_add_nc_u32_e32 v49, 14, v60
	v_lshlrev_b64 v[1:2], 3, v[1:2]
	v_add_nc_u32_e32 v24, 0xb6, v60
	v_add_nc_u32_e32 v53, 28, v60
	v_mad_u64_u32 v[12:13], null, s9, v12, v[5:6]
	v_mov_b32_e32 v5, v9
	v_add_co_u32 v40, vcc_lo, s1, v1
	v_add_co_ci_u32_e32 v41, vcc_lo, s2, v2, vcc_lo
	v_lshlrev_b64 v[1:2], 3, v[3:4]
	v_mad_u64_u32 v[3:4], null, s9, v14, v[5:6]
	v_mov_b32_e32 v7, v12
	v_mad_u64_u32 v[12:13], null, s8, v49, 0
	v_mov_b32_e32 v4, v11
	v_add_co_u32 v1, vcc_lo, v40, v1
	v_lshlrev_b64 v[5:6], 3, v[6:7]
	v_mov_b32_e32 v9, v3
	v_add_co_ci_u32_e32 v2, vcc_lo, v41, v2, vcc_lo
	v_mov_b32_e32 v3, v13
	v_add_nc_u32_e32 v26, 0x54, v60
	v_mad_u64_u32 v[14:15], null, s9, v15, v[4:5]
	v_add_co_u32 v15, vcc_lo, v40, v5
	v_lshlrev_b64 v[4:5], 3, v[8:9]
	v_add_co_ci_u32_e32 v16, vcc_lo, v41, v6, vcc_lo
	v_add_nc_u32_e32 v28, 0x8c, v60
	v_mov_b32_e32 v11, v14
	v_add_nc_u32_e32 v14, 0x46, v60
	v_mad_u64_u32 v[6:7], null, s9, v49, v[3:4]
	v_add_co_u32 v7, vcc_lo, v40, v4
	v_add_co_ci_u32_e32 v8, vcc_lo, v41, v5, vcc_lo
	v_add_nc_u32_e32 v5, 0x7e, v60
	v_lshlrev_b64 v[3:4], 3, v[10:11]
	v_mad_u64_u32 v[9:10], null, s8, v14, 0
	v_mov_b32_e32 v13, v6
	v_mad_u64_u32 v[17:18], null, s8, v5, 0
	v_add_co_u32 v19, vcc_lo, v40, v3
	v_add_co_ci_u32_e32 v20, vcc_lo, v41, v4, vcc_lo
	v_mov_b32_e32 v3, v10
	v_lshlrev_b64 v[11:12], 3, v[12:13]
	v_mov_b32_e32 v4, v18
	v_add_nc_u32_e32 v29, 0xc4, v60
	v_add_nc_u32_e32 v65, 42, v60
	v_add_nc_u32_e32 v33, 0x62, v60
	v_add_nc_u32_e32 v38, 0x9a, v60
	v_mad_u64_u32 v[13:14], null, s9, v14, v[3:4]
	v_mad_u64_u32 v[21:22], null, s9, v5, v[4:5]
	;; [unrolled: 1-line block ×3, first 2 shown]
	s_clause 0x3
	global_load_dwordx2 v[5:6], v[1:2], off
	global_load_dwordx2 v[3:4], v[15:16], off
	;; [unrolled: 1-line block ×4, first 2 shown]
	v_add_co_u32 v11, vcc_lo, v40, v11
	v_mov_b32_e32 v10, v13
	v_mov_b32_e32 v18, v21
	v_add_co_ci_u32_e32 v12, vcc_lo, v41, v12, vcc_lo
	v_mov_b32_e32 v13, v23
	v_lshlrev_b64 v[9:10], 3, v[9:10]
	v_mad_u64_u32 v[20:21], null, s8, v26, 0
	v_add_nc_u32_e32 v42, 0xd2, v60
	v_mad_u64_u32 v[13:14], null, s9, v24, v[13:14]
	v_lshlrev_b64 v[14:15], 3, v[17:18]
	v_mad_u64_u32 v[17:18], null, s8, v53, 0
	v_add_co_u32 v9, vcc_lo, v40, v9
	v_add_co_ci_u32_e32 v10, vcc_lo, v41, v10, vcc_lo
	v_mov_b32_e32 v23, v13
	v_add_co_u32 v13, vcc_lo, v40, v14
	v_add_co_ci_u32_e32 v14, vcc_lo, v41, v15, vcc_lo
	v_mov_b32_e32 v15, v18
	v_lshlrev_b64 v[18:19], 3, v[22:23]
	v_mad_u64_u32 v[24:25], null, s8, v28, 0
	v_mad_u64_u32 v[15:16], null, s9, v53, v[15:16]
	v_mov_b32_e32 v16, v21
	v_add_co_u32 v22, vcc_lo, v40, v18
	v_add_co_ci_u32_e32 v23, vcc_lo, v41, v19, vcc_lo
	v_mad_u64_u32 v[26:27], null, s9, v26, v[16:17]
	v_mov_b32_e32 v19, v25
	v_mov_b32_e32 v18, v15
	s_clause 0x3
	global_load_dwordx2 v[11:12], v[11:12], off
	global_load_dwordx2 v[9:10], v[9:10], off
	;; [unrolled: 1-line block ×4, first 2 shown]
	v_mad_u64_u32 v[22:23], null, s9, v28, v[19:20]
	v_mov_b32_e32 v21, v26
	v_mad_u64_u32 v[26:27], null, s8, v29, 0
	v_lshlrev_b64 v[17:18], 3, v[17:18]
	v_lshlrev_b64 v[19:20], 3, v[20:21]
	v_mov_b32_e32 v25, v22
	v_mad_u64_u32 v[22:23], null, s8, v65, 0
	v_mov_b32_e32 v21, v27
	v_add_co_u32 v17, vcc_lo, v40, v17
	v_add_co_ci_u32_e32 v18, vcc_lo, v41, v18, vcc_lo
	v_add_co_u32 v19, vcc_lo, v40, v19
	v_mad_u64_u32 v[27:28], null, s9, v29, v[21:22]
	v_mad_u64_u32 v[28:29], null, s8, v33, 0
	v_mov_b32_e32 v21, v23
	v_lshlrev_b64 v[23:24], 3, v[24:25]
	v_add_co_ci_u32_e32 v20, vcc_lo, v41, v20, vcc_lo
	v_mad_u64_u32 v[30:31], null, s9, v65, v[21:22]
	v_mov_b32_e32 v21, v29
	v_mad_u64_u32 v[31:32], null, s8, v38, 0
	v_add_co_u32 v36, vcc_lo, v40, v23
	v_mad_u64_u32 v[33:34], null, s9, v33, v[21:22]
	v_mad_u64_u32 v[34:35], null, s8, v42, 0
	v_mov_b32_e32 v21, v32
	v_mov_b32_e32 v23, v30
	v_add_co_ci_u32_e32 v37, vcc_lo, v41, v24, vcc_lo
	v_lshlrev_b64 v[24:25], 3, v[26:27]
	v_mad_u64_u32 v[26:27], null, s9, v38, v[21:22]
	v_lshlrev_b64 v[22:23], 3, v[22:23]
	v_mov_b32_e32 v21, v35
	v_mov_b32_e32 v29, v33
	v_add_co_u32 v38, vcc_lo, v40, v24
	v_add_co_ci_u32_e32 v39, vcc_lo, v41, v25, vcc_lo
	v_mad_u64_u32 v[24:25], null, s9, v42, v[21:22]
	v_lshlrev_b64 v[27:28], 3, v[28:29]
	v_mov_b32_e32 v32, v26
	v_add_co_u32 v21, vcc_lo, v40, v22
	v_add_co_ci_u32_e32 v22, vcc_lo, v41, v23, vcc_lo
	v_mov_b32_e32 v35, v24
	v_lshlrev_b64 v[25:26], 3, v[31:32]
	v_add_co_u32 v23, vcc_lo, v40, v27
	v_add_co_ci_u32_e32 v24, vcc_lo, v41, v28, vcc_lo
	v_lshlrev_b64 v[27:28], 3, v[34:35]
	v_add_co_u32 v33, vcc_lo, v40, v25
	v_add_co_ci_u32_e32 v34, vcc_lo, v41, v26, vcc_lo
	v_add_co_u32 v40, vcc_lo, v40, v27
	v_add_co_ci_u32_e32 v41, vcc_lo, v41, v28, vcc_lo
	s_clause 0x7
	global_load_dwordx2 v[27:28], v[17:18], off
	global_load_dwordx2 v[25:26], v[19:20], off
	;; [unrolled: 1-line block ×8, first 2 shown]
.LBB0_11:
	s_or_b32 exec_lo, exec_lo, s0
	s_mov_b32 s0, 0
	s_branch .LBB0_13
.LBB0_12:
	s_mov_b32 s0, -1
                                        ; implicit-def: $vgpr1
                                        ; implicit-def: $vgpr23
                                        ; implicit-def: $vgpr21
                                        ; implicit-def: $vgpr17
                                        ; implicit-def: $vgpr19
                                        ; implicit-def: $vgpr29
                                        ; implicit-def: $vgpr31
                                        ; implicit-def: $vgpr25
                                        ; implicit-def: $vgpr27
                                        ; implicit-def: $vgpr13
                                        ; implicit-def: $vgpr15
                                        ; implicit-def: $vgpr9
                                        ; implicit-def: $vgpr11
                                        ; implicit-def: $vgpr7
                                        ; implicit-def: $vgpr3
                                        ; implicit-def: $vgpr5
                                        ; implicit-def: $vgpr49
                                        ; implicit-def: $vgpr53
                                        ; implicit-def: $vgpr65
.LBB0_13:
	s_load_dwordx2 s[16:17], s[4:5], 0x0
	v_add_nc_u32_e32 v66, 56, v60
	v_add_nc_u32_e32 v69, 0x70, v60
	;; [unrolled: 1-line block ×7, first 2 shown]
	s_andn2_b32 vcc_lo, exec_lo, s0
	s_cbranch_vccnz .LBB0_15
; %bb.14:
	s_waitcnt vmcnt(12)
	v_mad_u64_u32 v[1:2], null, s12, v61, 0
	v_mad_u64_u32 v[3:4], null, s8, v60, 0
	;; [unrolled: 1-line block ×4, first 2 shown]
	s_waitcnt vmcnt(8)
	v_add_nc_u32_e32 v13, 0xa8, v60
	s_lshl_b64 s[0:1], s[6:7], 3
	v_mad_u64_u32 v[9:10], null, s13, v61, v[2:3]
	v_mad_u64_u32 v[10:11], null, s9, v60, v[4:5]
	v_mov_b32_e32 v4, v6
	v_mad_u64_u32 v[11:12], null, s8, v13, 0
	v_mov_b32_e32 v6, v8
	v_mov_b32_e32 v2, v9
	v_mad_u64_u32 v[8:9], null, s9, v66, v[4:5]
	v_mov_b32_e32 v4, v10
	s_add_u32 s0, s10, s0
	v_lshlrev_b64 v[1:2], 3, v[1:2]
	s_addc_u32 s1, s11, s1
	v_mad_u64_u32 v[9:10], null, s9, v69, v[6:7]
	v_lshlrev_b64 v[3:4], 3, v[3:4]
	v_mov_b32_e32 v10, v12
	v_add_co_u32 v39, vcc_lo, s0, v1
	v_add_co_ci_u32_e32 v40, vcc_lo, s1, v2, vcc_lo
	v_mov_b32_e32 v6, v8
	v_add_nc_u32_e32 v49, 14, v60
	v_add_co_u32 v1, vcc_lo, v39, v3
	v_add_co_ci_u32_e32 v2, vcc_lo, v40, v4, vcc_lo
	v_lshlrev_b64 v[3:4], 3, v[5:6]
	v_mad_u64_u32 v[5:6], null, s9, v13, v[10:11]
	v_mad_u64_u32 v[13:14], null, s8, v49, 0
	v_mov_b32_e32 v8, v9
	v_mad_u64_u32 v[9:10], null, s8, v64, 0
	v_add_co_u32 v3, vcc_lo, v39, v3
	v_mov_b32_e32 v12, v5
	v_lshlrev_b64 v[5:6], 3, v[7:8]
	v_mov_b32_e32 v7, v14
	v_add_co_ci_u32_e32 v4, vcc_lo, v40, v4, vcc_lo
	s_waitcnt vmcnt(1)
	v_add_nc_u32_e32 v22, 0xb6, v60
	v_lshlrev_b64 v[11:12], 3, v[11:12]
	v_add_co_u32 v15, vcc_lo, v39, v5
	v_mov_b32_e32 v5, v10
	v_mad_u64_u32 v[7:8], null, s9, v49, v[7:8]
	v_mad_u64_u32 v[20:21], null, s8, v22, 0
	;; [unrolled: 1-line block ×4, first 2 shown]
	v_add_co_ci_u32_e32 v16, vcc_lo, v40, v6, vcc_lo
	v_mov_b32_e32 v14, v7
	v_add_co_u32 v10, vcc_lo, v39, v11
	v_add_co_ci_u32_e32 v11, vcc_lo, v40, v12, vcc_lo
	s_clause 0x3
	global_load_dwordx2 v[5:6], v[1:2], off
	global_load_dwordx2 v[3:4], v[3:4], off
	;; [unrolled: 1-line block ×4, first 2 shown]
	v_lshlrev_b64 v[11:12], 3, v[13:14]
	v_mov_b32_e32 v13, v19
	v_mov_b32_e32 v14, v21
	v_add_nc_u32_e32 v53, 28, v60
	v_mov_b32_e32 v10, v17
	v_add_nc_u32_e32 v27, 0xc4, v60
	v_add_co_u32 v11, vcc_lo, v39, v11
	v_mad_u64_u32 v[15:16], null, s9, v68, v[13:14]
	v_lshlrev_b64 v[9:10], 3, v[9:10]
	v_add_co_ci_u32_e32 v12, vcc_lo, v40, v12, vcc_lo
	v_add_nc_u32_e32 v65, 42, v60
	v_add_nc_u32_e32 v35, 0x9a, v60
	;; [unrolled: 1-line block ×3, first 2 shown]
	v_mad_u64_u32 v[13:14], null, s9, v22, v[14:15]
	s_waitcnt vmcnt(4)
	v_mad_u64_u32 v[22:23], null, s8, v53, 0
	v_mov_b32_e32 v19, v15
	v_add_co_u32 v9, vcc_lo, v39, v9
	v_add_co_ci_u32_e32 v10, vcc_lo, v40, v10, vcc_lo
	v_lshlrev_b64 v[14:15], 3, v[18:19]
	v_mov_b32_e32 v21, v13
	v_mov_b32_e32 v13, v23
	v_mad_u64_u32 v[30:31], null, s8, v35, 0
	v_lshlrev_b64 v[16:17], 3, v[20:21]
	v_mad_u64_u32 v[18:19], null, s9, v53, v[13:14]
	v_mad_u64_u32 v[19:20], null, s8, v63, 0
	v_add_co_u32 v13, vcc_lo, v39, v14
	v_add_co_ci_u32_e32 v14, vcc_lo, v40, v15, vcc_lo
	v_add_co_u32 v24, vcc_lo, v39, v16
	v_add_co_ci_u32_e32 v25, vcc_lo, v40, v17, vcc_lo
	v_mov_b32_e32 v23, v18
	v_mad_u64_u32 v[17:18], null, s8, v67, 0
	v_mov_b32_e32 v15, v20
	v_mad_u64_u32 v[20:21], null, s9, v63, v[15:16]
	s_clause 0x3
	global_load_dwordx2 v[11:12], v[11:12], off
	global_load_dwordx2 v[9:10], v[9:10], off
	;; [unrolled: 1-line block ×4, first 2 shown]
	v_mad_u64_u32 v[25:26], null, s9, v67, v[18:19]
	v_lshlrev_b64 v[21:22], 3, v[22:23]
	v_mad_u64_u32 v[23:24], null, s8, v27, 0
	v_lshlrev_b64 v[19:20], 3, v[19:20]
	v_mov_b32_e32 v18, v25
	v_mad_u64_u32 v[25:26], null, s8, v65, 0
	v_add_co_u32 v21, vcc_lo, v39, v21
	v_lshlrev_b64 v[17:18], 3, v[17:18]
	v_add_co_ci_u32_e32 v22, vcc_lo, v40, v22, vcc_lo
	v_add_co_u32 v19, vcc_lo, v39, v19
	v_mad_u64_u32 v[27:28], null, s9, v27, v[24:25]
	v_mad_u64_u32 v[28:29], null, s8, v62, 0
	v_add_co_ci_u32_e32 v20, vcc_lo, v40, v20, vcc_lo
	v_add_co_u32 v17, vcc_lo, v39, v17
	v_mov_b32_e32 v24, v27
	v_mad_u64_u32 v[26:27], null, s9, v65, v[26:27]
	v_mov_b32_e32 v27, v29
	v_add_co_ci_u32_e32 v18, vcc_lo, v40, v18, vcc_lo
	v_lshlrev_b64 v[23:24], 3, v[23:24]
	v_mad_u64_u32 v[32:33], null, s9, v62, v[27:28]
	v_mad_u64_u32 v[33:34], null, s8, v36, 0
	v_mov_b32_e32 v27, v31
	v_lshlrev_b64 v[25:26], 3, v[25:26]
	v_add_co_u32 v23, vcc_lo, v39, v23
	v_mov_b32_e32 v29, v32
	v_mad_u64_u32 v[31:32], null, s9, v35, v[27:28]
	v_mov_b32_e32 v27, v34
	v_add_co_ci_u32_e32 v24, vcc_lo, v40, v24, vcc_lo
	v_mad_u64_u32 v[34:35], null, s9, v36, v[27:28]
	v_lshlrev_b64 v[27:28], 3, v[28:29]
	v_add_co_u32 v35, vcc_lo, v39, v25
	v_add_co_ci_u32_e32 v36, vcc_lo, v40, v26, vcc_lo
	v_lshlrev_b64 v[25:26], 3, v[30:31]
	v_add_co_u32 v37, vcc_lo, v39, v27
	v_add_co_ci_u32_e32 v38, vcc_lo, v40, v28, vcc_lo
	v_lshlrev_b64 v[27:28], 3, v[33:34]
	v_add_co_u32 v33, vcc_lo, v39, v25
	v_add_co_ci_u32_e32 v34, vcc_lo, v40, v26, vcc_lo
	v_add_co_u32 v39, vcc_lo, v39, v27
	v_add_co_ci_u32_e32 v40, vcc_lo, v40, v28, vcc_lo
	s_clause 0x7
	global_load_dwordx2 v[27:28], v[21:22], off
	global_load_dwordx2 v[25:26], v[19:20], off
	global_load_dwordx2 v[31:32], v[17:18], off
	global_load_dwordx2 v[29:30], v[23:24], off
	global_load_dwordx2 v[19:20], v[35:36], off
	global_load_dwordx2 v[17:18], v[37:38], off
	global_load_dwordx2 v[21:22], v[33:34], off
	global_load_dwordx2 v[23:24], v[39:40], off
.LBB0_15:
	s_waitcnt vmcnt(13)
	v_sub_f32_e32 v33, v5, v7
	s_waitcnt vmcnt(12)
	v_sub_f32_e32 v2, v4, v2
	;; [unrolled: 2-line block ×4, first 2 shown]
	v_sub_f32_e32 v34, v6, v8
	v_sub_f32_e32 v1, v3, v1
	v_fma_f32 v7, v5, 2.0, -v33
	v_fma_f32 v4, v4, 2.0, -v2
	v_sub_f32_e32 v5, v33, v2
	v_fma_f32 v2, v11, 2.0, -v35
	v_fma_f32 v9, v9, 2.0, -v36
	;; [unrolled: 1-line block ×4, first 2 shown]
	v_add_f32_e32 v6, v34, v1
	v_sub_f32_e32 v1, v12, v16
	v_sub_f32_e32 v9, v2, v9
	;; [unrolled: 1-line block ×3, first 2 shown]
	v_fma_f32 v13, v33, 2.0, -v5
	v_fma_f32 v14, v34, 2.0, -v6
	s_waitcnt vmcnt(5)
	v_sub_f32_e32 v33, v27, v31
	v_sub_f32_e32 v34, v28, v32
	s_waitcnt vmcnt(4)
	v_sub_f32_e32 v32, v25, v29
	v_sub_f32_e32 v31, v26, v30
	v_fma_f32 v11, v2, 2.0, -v9
	v_add_f32_e32 v16, v1, v36
	s_waitcnt vmcnt(1)
	v_sub_f32_e32 v21, v19, v21
	s_waitcnt vmcnt(0)
	v_sub_f32_e32 v2, v17, v23
	v_fma_f32 v12, v12, 2.0, -v1
	v_fma_f32 v30, v28, 2.0, -v34
	;; [unrolled: 1-line block ×5, first 2 shown]
	v_sub_f32_e32 v31, v33, v31
	v_add_f32_e32 v32, v34, v32
	v_fma_f32 v1, v19, 2.0, -v21
	v_sub_f32_e32 v23, v18, v24
	v_fma_f32 v19, v17, 2.0, -v2
	v_mov_b32_e32 v24, 3
	v_fma_f32 v29, v27, 2.0, -v33
	v_fma_f32 v17, v33, 2.0, -v31
	;; [unrolled: 1-line block ×3, first 2 shown]
	v_sub_f32_e32 v54, v1, v19
	v_fma_f32 v18, v34, 2.0, -v32
	v_mul_u32_u24_e32 v34, 0x1c0, v60
	v_lshlrev_b32_sdwa v73, v24, v50 dst_sel:DWORD dst_unused:UNUSED_PAD src0_sel:DWORD src1_sel:WORD_0
	v_sub_f32_e32 v3, v7, v3
	v_sub_f32_e32 v4, v8, v4
	v_fma_f32 v19, v1, 2.0, -v54
	v_sub_f32_e32 v1, v21, v23
	v_add3_u32 v23, 0, v34, v73
	v_sub_f32_e32 v22, v20, v22
	v_fma_f32 v7, v7, 2.0, -v3
	v_fma_f32 v8, v8, 2.0, -v4
	;; [unrolled: 1-line block ×3, first 2 shown]
	ds_write2_b64 v23, v[3:4], v[5:6] offset0:28 offset1:42
	v_mul_u32_u24_e32 v3, 0x70, v60
	v_fma_f32 v20, v20, 2.0, -v22
	v_sub_f32_e32 v15, v35, v15
	v_sub_f32_e32 v10, v12, v10
	;; [unrolled: 1-line block ×4, first 2 shown]
	v_mul_i32_i24_e32 v24, 0x1c0, v49
	ds_write2_b64 v23, v[7:8], v[13:14] offset1:14
	v_mul_i32_i24_e32 v7, 0x1c0, v53
	v_add3_u32 v70, 0, v3, v73
	v_sub_f32_e32 v55, v20, v33
	v_add_f32_e32 v2, v22, v2
	v_mul_i32_i24_e32 v13, 0x1c0, v65
	v_fma_f32 v12, v12, 2.0, -v10
	v_fma_f32 v27, v35, 2.0, -v15
	;; [unrolled: 1-line block ×4, first 2 shown]
	v_add3_u32 v8, 0, v24, v73
	v_add3_u32 v4, 0, v7, v73
	v_add_nc_u32_e32 v3, 0x1420, v70
	v_fma_f32 v20, v20, 2.0, -v55
	v_fma_f32 v21, v21, 2.0, -v1
	;; [unrolled: 1-line block ×3, first 2 shown]
	v_add3_u32 v5, 0, v13, v73
	ds_write2_b64 v8, v[11:12], v[27:28] offset1:14
	ds_write2_b64 v8, v[9:10], v[15:16] offset0:28 offset1:42
	ds_write2_b64 v4, v[29:30], v[17:18] offset1:14
	ds_write2_b64 v4, v[25:26], v[31:32] offset0:28 offset1:42
	;; [unrolled: 2-line block ×3, first 2 shown]
	s_waitcnt lgkmcnt(0)
	s_barrier
	buffer_gl0_inv
	ds_read2st64_b64 v[21:24], v70 offset1:7
	ds_read2_b64 v[29:32], v3 offset1:252
	v_mul_i32_i24_e32 v3, 0x70, v49
	v_add_nc_u32_e32 v4, 0x2220, v70
	v_add_nc_u32_e32 v5, 0x3020, v70
	;; [unrolled: 1-line block ×4, first 2 shown]
	v_add3_u32 v71, 0, v3, v73
	ds_read2_b64 v[45:48], v4 offset1:252
	ds_read2_b64 v[41:44], v5 offset1:252
	;; [unrolled: 1-line block ×4, first 2 shown]
	ds_read_b64 v[56:57], v71
	ds_read_b64 v[58:59], v70 offset:23072
	v_cmp_gt_u32_e32 vcc_lo, 56, v0
	v_mul_i32_i24_e32 v72, 0x70, v53
                                        ; kill: def $vgpr3 killed $sgpr0 killed $exec
                                        ; implicit-def: $vgpr8
                                        ; implicit-def: $vgpr12
	s_and_saveexec_b32 s0, vcc_lo
	s_cbranch_execz .LBB0_17
; %bb.16:
	v_add3_u32 v1, 0, v72, v73
	v_add_nc_u32_e32 v9, 64, v70
	ds_read_b64 v[54:55], v1
	ds_read2st64_b64 v[1:4], v9 offset0:13 offset1:20
	ds_read2st64_b64 v[5:8], v9 offset0:27 offset1:34
	;; [unrolled: 1-line block ×3, first 2 shown]
.LBB0_17:
	s_or_b32 exec_lo, exec_lo, s0
	v_and_b32_e32 v86, 3, v60
	v_and_b32_e32 v87, 3, v49
	v_lshrrev_b32_e32 v89, 2, v60
	v_lshrrev_b32_e32 v88, 2, v49
	v_mul_u32_u24_e32 v13, 6, v86
	v_mul_u32_u24_e32 v14, 6, v87
	;; [unrolled: 1-line block ×3, first 2 shown]
	v_mul_lo_u32 v88, v88, 28
	v_lshlrev_b32_e32 v25, 3, v13
	v_lshlrev_b32_e32 v82, 3, v14
	v_or_b32_e32 v86, v89, v86
	s_clause 0x5
	global_load_dwordx4 v[17:20], v25, s[16:17]
	global_load_dwordx4 v[74:77], v82, s[16:17]
	global_load_dwordx4 v[13:16], v25, s[16:17] offset:16
	global_load_dwordx4 v[78:81], v82, s[16:17] offset:16
	;; [unrolled: 1-line block ×4, first 2 shown]
	v_or_b32_e32 v87, v88, v87
	v_mul_u32_u24_e32 v86, 0x70, v86
	s_waitcnt vmcnt(0) lgkmcnt(0)
	s_barrier
	buffer_gl0_inv
	v_mul_lo_u32 v87, 0x70, v87
	v_add3_u32 v86, 0, v86, v73
	v_add3_u32 v73, 0, v87, v73
	v_add_nc_u32_e32 v87, 0x400, v86
	v_add_nc_u32_e32 v88, 0x400, v73
	v_mul_f32_e32 v89, v20, v32
	v_mul_f32_e32 v90, v20, v31
	;; [unrolled: 1-line block ×24, first 2 shown]
	v_fma_f32 v31, v19, v31, -v89
	v_fmac_f32_e32 v90, v19, v32
	v_fmac_f32_e32 v81, v38, v80
	v_fma_f32 v38, v25, v39, -v101
	v_fmac_f32_e32 v102, v25, v40
	v_fma_f32 v23, v17, v23, -v99
	;; [unrolled: 2-line block ×11, first 2 shown]
	v_add_f32_e32 v35, v23, v24
	v_add_f32_e32 v36, v100, v104
	v_add_f32_e32 v39, v31, v38
	v_add_f32_e32 v40, v90, v102
	v_add_f32_e32 v45, v29, v34
	v_add_f32_e32 v46, v75, v85
	v_add_f32_e32 v47, v30, v33
	v_add_f32_e32 v48, v77, v83
	v_sub_f32_e32 v23, v23, v24
	v_sub_f32_e32 v24, v100, v104
	;; [unrolled: 1-line block ×4, first 2 shown]
	v_add_f32_e32 v42, v32, v43
	v_add_f32_e32 v44, v94, v96
	v_sub_f32_e32 v32, v43, v32
	v_sub_f32_e32 v43, v96, v94
	;; [unrolled: 1-line block ×6, first 2 shown]
	v_add_f32_e32 v58, v41, v37
	v_sub_f32_e32 v37, v37, v41
	v_sub_f32_e32 v41, v81, v79
	v_add_f32_e32 v74, v39, v35
	v_add_f32_e32 v75, v40, v36
	;; [unrolled: 1-line block ×5, first 2 shown]
	v_sub_f32_e32 v76, v39, v35
	v_sub_f32_e32 v77, v40, v36
	v_sub_f32_e32 v35, v35, v42
	v_sub_f32_e32 v36, v36, v44
	v_sub_f32_e32 v39, v42, v39
	v_sub_f32_e32 v40, v44, v40
	v_add_f32_e32 v78, v32, v31
	v_add_f32_e32 v79, v43, v38
	v_sub_f32_e32 v80, v32, v31
	v_sub_f32_e32 v81, v43, v38
	v_sub_f32_e32 v31, v31, v23
	v_sub_f32_e32 v38, v38, v24
	v_sub_f32_e32 v91, v37, v30
	v_sub_f32_e32 v92, v41, v33
	v_add_f32_e32 v42, v42, v74
	v_add_f32_e32 v44, v44, v75
	v_sub_f32_e32 v84, v47, v45
	v_sub_f32_e32 v85, v48, v46
	v_sub_f32_e32 v45, v45, v58
	v_sub_f32_e32 v46, v46, v59
	v_sub_f32_e32 v47, v58, v47
	v_sub_f32_e32 v48, v59, v48
	v_add_f32_e32 v89, v37, v30
	v_add_f32_e32 v90, v41, v33
	v_sub_f32_e32 v30, v30, v29
	v_sub_f32_e32 v33, v33, v34
	v_add_f32_e32 v58, v58, v82
	v_add_f32_e32 v59, v59, v83
	v_sub_f32_e32 v32, v23, v32
	v_sub_f32_e32 v43, v24, v43
	v_add_f32_e32 v74, v78, v23
	v_add_f32_e32 v75, v79, v24
	v_mul_f32_e32 v35, 0x3f4a47b2, v35
	v_mul_f32_e32 v36, 0x3f4a47b2, v36
	;; [unrolled: 1-line block ×10, first 2 shown]
	v_add_f32_e32 v21, v42, v21
	v_add_f32_e32 v22, v44, v22
	v_sub_f32_e32 v37, v29, v37
	v_sub_f32_e32 v41, v34, v41
	v_add_f32_e32 v29, v89, v29
	v_add_f32_e32 v34, v90, v34
	v_mul_f32_e32 v45, 0x3f4a47b2, v45
	v_mul_f32_e32 v46, 0x3f4a47b2, v46
	;; [unrolled: 1-line block ×6, first 2 shown]
	v_add_f32_e32 v23, v58, v56
	v_add_f32_e32 v24, v59, v57
	v_fmamk_f32 v39, v39, 0x3d64c772, v35
	v_fma_f32 v56, 0x3f3bfb3b, v76, -v78
	v_fmamk_f32 v40, v40, 0x3d64c772, v36
	v_fma_f32 v57, 0x3f3bfb3b, v77, -v79
	v_fma_f32 v36, 0xbf3bfb3b, v77, -v36
	v_fmamk_f32 v77, v32, 0x3eae86e6, v80
	v_fma_f32 v78, 0xbeae86e6, v32, -v82
	v_fmamk_f32 v79, v43, 0x3eae86e6, v81
	v_fma_f32 v43, 0xbeae86e6, v43, -v83
	v_fma_f32 v82, 0x3f5ff5aa, v30, -v91
	;; [unrolled: 1-line block ×3, first 2 shown]
	v_fmamk_f32 v30, v42, 0xbf955555, v21
	v_fmamk_f32 v33, v44, 0xbf955555, v22
	v_fma_f32 v35, 0xbf3bfb3b, v76, -v35
	v_fma_f32 v76, 0x3f5ff5aa, v31, -v80
	;; [unrolled: 1-line block ×3, first 2 shown]
	v_fmamk_f32 v31, v47, 0x3d64c772, v45
	v_fmamk_f32 v32, v48, 0x3d64c772, v46
	v_fma_f32 v47, 0x3f3bfb3b, v84, -v89
	v_fma_f32 v48, 0x3f3bfb3b, v85, -v90
	;; [unrolled: 1-line block ×4, first 2 shown]
	v_fmamk_f32 v80, v37, 0x3eae86e6, v91
	v_fmamk_f32 v81, v41, 0x3eae86e6, v92
	v_fma_f32 v84, 0xbeae86e6, v37, -v93
	v_fma_f32 v85, 0xbeae86e6, v41, -v94
	v_fmamk_f32 v37, v58, 0xbf955555, v23
	v_fmamk_f32 v41, v59, 0xbf955555, v24
	v_fmac_f32_e32 v77, 0x3ee1c552, v74
	v_fmac_f32_e32 v79, 0x3ee1c552, v75
	v_add_f32_e32 v39, v39, v30
	v_add_f32_e32 v40, v40, v33
	v_fmac_f32_e32 v76, 0x3ee1c552, v74
	v_fmac_f32_e32 v38, 0x3ee1c552, v75
	;; [unrolled: 1-line block ×4, first 2 shown]
	v_add_f32_e32 v42, v56, v30
	v_add_f32_e32 v44, v57, v33
	;; [unrolled: 1-line block ×4, first 2 shown]
	v_fmac_f32_e32 v80, 0x3ee1c552, v29
	v_fmac_f32_e32 v81, 0x3ee1c552, v34
	v_add_f32_e32 v58, v31, v37
	v_add_f32_e32 v59, v32, v41
	v_fmac_f32_e32 v82, 0x3ee1c552, v29
	v_fmac_f32_e32 v83, 0x3ee1c552, v34
	;; [unrolled: 1-line block ×4, first 2 shown]
	v_add_f32_e32 v47, v47, v37
	v_add_f32_e32 v48, v48, v41
	;; [unrolled: 1-line block ×5, first 2 shown]
	v_sub_f32_e32 v30, v40, v77
	v_add_f32_e32 v31, v43, v56
	v_sub_f32_e32 v32, v57, v78
	v_sub_f32_e32 v33, v42, v38
	v_add_f32_e32 v34, v76, v44
	v_add_f32_e32 v35, v38, v42
	v_sub_f32_e32 v36, v44, v76
	v_sub_f32_e32 v37, v56, v43
	v_add_f32_e32 v38, v78, v57
	v_sub_f32_e32 v39, v39, v79
	v_add_f32_e32 v40, v77, v40
	v_add_f32_e32 v41, v81, v58
	v_sub_f32_e32 v42, v59, v80
	v_add_f32_e32 v43, v85, v74
	v_sub_f32_e32 v44, v75, v84
	v_sub_f32_e32 v45, v47, v83
	v_add_f32_e32 v46, v82, v48
	v_add_f32_e32 v47, v83, v47
	v_sub_f32_e32 v48, v48, v82
	v_sub_f32_e32 v56, v74, v85
	v_add_f32_e32 v57, v84, v75
	v_sub_f32_e32 v58, v58, v81
	v_add_f32_e32 v59, v80, v59
	ds_write2_b64 v86, v[21:22], v[29:30] offset1:56
	ds_write2_b64 v86, v[31:32], v[33:34] offset0:112 offset1:168
	ds_write2_b64 v87, v[35:36], v[37:38] offset0:96 offset1:152
	ds_write_b64 v86, v[39:40] offset:2688
	ds_write2_b64 v73, v[23:24], v[41:42] offset1:56
	ds_write2_b64 v73, v[43:44], v[45:46] offset0:112 offset1:168
	ds_write2_b64 v88, v[47:48], v[56:57] offset0:96 offset1:152
	ds_write_b64 v73, v[58:59] offset:2688
	s_and_saveexec_b32 s0, vcc_lo
	s_cbranch_execz .LBB0_19
; %bb.18:
	v_mul_f32_e32 v21, v2, v18
	v_mul_f32_e32 v22, v8, v16
	;; [unrolled: 1-line block ×6, first 2 shown]
	v_fma_f32 v22, v7, v15, -v22
	v_fma_f32 v23, v5, v13, -v23
	;; [unrolled: 1-line block ×6, first 2 shown]
	v_mul_f32_e32 v11, v11, v28
	v_mul_f32_e32 v18, v1, v18
	;; [unrolled: 1-line block ×4, first 2 shown]
	v_sub_f32_e32 v31, v22, v23
	v_sub_f32_e32 v32, v24, v29
	v_fmac_f32_e32 v11, v12, v27
	v_fmac_f32_e32 v18, v2, v17
	v_mul_f32_e32 v5, v5, v14
	v_mul_f32_e32 v7, v7, v16
	v_fmac_f32_e32 v1, v10, v25
	v_fmac_f32_e32 v3, v4, v19
	v_sub_f32_e32 v28, v21, v30
	v_add_f32_e32 v2, v31, v32
	v_add_f32_e32 v9, v18, v11
	v_fmac_f32_e32 v5, v6, v13
	v_fmac_f32_e32 v7, v8, v15
	v_add_f32_e32 v6, v3, v1
	v_add_f32_e32 v8, v2, v28
	v_add_f32_e32 v14, v21, v30
	v_add_f32_e32 v15, v24, v29
	v_add_f32_e32 v2, v5, v7
	v_add_f32_e32 v4, v6, v9
	v_add_f32_e32 v17, v23, v22
	v_sub_f32_e32 v33, v31, v32
	v_add_f32_e32 v19, v15, v14
	v_sub_f32_e32 v10, v9, v2
	v_add_f32_e32 v4, v2, v4
	v_sub_f32_e32 v16, v2, v6
	v_sub_f32_e32 v5, v7, v5
	;; [unrolled: 1-line block ×4, first 2 shown]
	v_add_f32_e32 v2, v55, v4
	v_sub_f32_e32 v24, v32, v28
	v_sub_f32_e32 v21, v14, v17
	;; [unrolled: 1-line block ×3, first 2 shown]
	v_mul_f32_e32 v27, 0xbf08b237, v33
	v_mul_f32_e32 v10, 0x3f4a47b2, v10
	v_fmamk_f32 v22, v4, 0xbf955555, v2
	v_add_f32_e32 v4, v17, v19
	v_sub_f32_e32 v18, v5, v3
	v_sub_f32_e32 v23, v11, v5
	v_add_f32_e32 v5, v5, v3
	v_mul_f32_e32 v26, 0x3f5ff5aa, v24
	v_sub_f32_e32 v6, v6, v9
	v_sub_f32_e32 v3, v3, v11
	v_mul_f32_e32 v7, 0x3f4a47b2, v21
	v_sub_f32_e32 v17, v17, v15
	v_fmamk_f32 v13, v12, 0x3eae86e6, v27
	v_mul_f32_e32 v20, 0x3d64c772, v16
	v_fmamk_f32 v16, v16, 0x3d64c772, v10
	v_add_f32_e32 v1, v54, v4
	v_mul_f32_e32 v18, 0xbf08b237, v18
	v_sub_f32_e32 v9, v15, v14
	v_add_f32_e32 v5, v5, v11
	v_fma_f32 v11, 0xbeae86e6, v12, -v26
	v_fma_f32 v10, 0xbf3bfb3b, v6, -v10
	v_mul_f32_e32 v12, 0x3f5ff5aa, v3
	v_fmamk_f32 v19, v17, 0x3d64c772, v7
	v_mul_f32_e32 v17, 0x3d64c772, v17
	v_fmamk_f32 v21, v4, 0xbf955555, v1
	v_fmamk_f32 v25, v23, 0x3eae86e6, v18
	v_fma_f32 v7, 0xbf3bfb3b, v9, -v7
	v_add_f32_e32 v14, v10, v22
	v_fma_f32 v15, 0xbeae86e6, v23, -v12
	v_fma_f32 v6, 0x3f3bfb3b, v6, -v20
	;; [unrolled: 1-line block ×5, first 2 shown]
	v_fmac_f32_e32 v13, 0x3ee1c552, v8
	v_add_f32_e32 v16, v16, v22
	v_add_f32_e32 v19, v19, v21
	v_fmac_f32_e32 v25, 0x3ee1c552, v5
	v_fmac_f32_e32 v11, 0x3ee1c552, v8
	v_add_f32_e32 v7, v7, v21
	v_fmac_f32_e32 v15, 0x3ee1c552, v5
	v_add_f32_e32 v12, v6, v22
	v_fmac_f32_e32 v10, 0x3ee1c552, v8
	v_fmac_f32_e32 v3, 0x3ee1c552, v5
	v_add_f32_e32 v17, v9, v21
	v_add_f32_e32 v4, v13, v16
	;; [unrolled: 1-line block ×3, first 2 shown]
	v_sub_f32_e32 v5, v7, v15
	v_sub_f32_e32 v8, v12, v10
	v_add_f32_e32 v10, v10, v12
	v_sub_f32_e32 v12, v14, v11
	v_add_f32_e32 v11, v15, v7
	;; [unrolled: 2-line block ×3, first 2 shown]
	v_add_nc_u32_e32 v15, 0x5000, v70
	v_sub_f32_e32 v9, v17, v3
	v_add_nc_u32_e32 v16, 0x5800, v70
	v_add_f32_e32 v7, v3, v17
	v_sub_f32_e32 v3, v19, v25
	ds_write2_b64 v15, v[1:2], v[13:14] offset0:184 offset1:240
	ds_write2_b64 v16, v[11:12], v[9:10] offset0:40 offset1:96
	;; [unrolled: 1-line block ×3, first 2 shown]
	ds_write_b64 v70, v[3:4] offset:24640
.LBB0_19:
	s_or_b32 exec_lo, exec_lo, s0
	v_mul_lo_u16 v1, v60, 37
	v_mul_lo_u16 v4, 0x93, v64
	v_mul_lo_u16 v6, 0x93, v63
	v_and_b32_e32 v12, 0xff, v65
	v_lshrrev_b16 v7, 2, v53
	v_lshrrev_b16 v8, 10, v1
	;; [unrolled: 1-line block ×5, first 2 shown]
	v_mul_lo_u16 v13, 0x93, v66
	v_mul_lo_u16 v2, v8, 28
	v_mul_lo_u16 v3, v27, 28
	v_mul_lo_u16 v5, v28, 28
	v_and_b32_e32 v1, 63, v1
	s_waitcnt lgkmcnt(0)
	v_sub_nc_u16 v2, v60, v2
	v_sub_nc_u16 v3, v64, v3
	;; [unrolled: 1-line block ×3, first 2 shown]
	v_mul_lo_u16 v1, v1, 37
	s_barrier
	v_and_b32_e32 v90, 0xff, v2
	v_lshrrev_b16 v2, 2, v12
	v_and_b32_e32 v91, 0xff, v3
	v_lshrrev_b16 v3, 2, v62
	;; [unrolled: 2-line block ×3, first 2 shown]
	v_mul_lo_u16 v2, v2, 37
	v_lshlrev_b32_e32 v1, 3, v91
	v_mul_lo_u16 v3, v3, 37
	v_lshlrev_b32_e32 v9, 3, v93
	buffer_gl0_inv
	v_lshrrev_b16 v94, 8, v2
	v_and_b32_e32 v2, 63, v7
	v_lshrrev_b16 v86, 8, v3
	v_lshrrev_b16 v29, 12, v13
	s_clause 0x1
	global_load_dwordx2 v[35:36], v1, s[16:17] offset:192
	global_load_dwordx2 v[37:38], v9, s[16:17] offset:192
	v_mul_lo_u16 v1, v2, 37
	v_mul_lo_u16 v7, v86, 28
	;; [unrolled: 1-line block ×3, first 2 shown]
	v_lshlrev_b32_e32 v2, 3, v90
	v_mul_lo_u16 v9, v94, 28
	v_lshrrev_b16 v95, 8, v1
	v_sub_nc_u16 v7, v62, v7
	v_mul_lo_u16 v5, v92, 28
	v_sub_nc_u16 v3, v66, v3
	global_load_dwordx2 v[39:40], v2, s[16:17] offset:192
	v_sub_nc_u16 v1, v65, v9
	v_mul_lo_u16 v2, v95, 28
	v_and_b32_e32 v97, 0xff, v7
	v_sub_nc_u16 v5, v49, v5
	v_and_b32_e32 v96, 0xff, v3
	v_and_b32_e32 v99, 0xff, v1
	v_sub_nc_u16 v1, v53, v2
	v_lshlrev_b32_e32 v3, 3, v97
	v_and_b32_e32 v98, 0xff, v5
	v_lshlrev_b32_e32 v5, 3, v96
	s_clause 0x1
	global_load_dwordx2 v[41:42], v3, s[16:17] offset:192
	global_load_dwordx2 v[43:44], v5, s[16:17] offset:192
	v_and_b32_e32 v100, 0xff, v1
	v_lshlrev_b32_e32 v2, 3, v98
	v_lshlrev_b32_e32 v3, 3, v99
	s_clause 0x1
	global_load_dwordx2 v[45:46], v2, s[16:17] offset:192
	global_load_dwordx2 v[47:48], v3, s[16:17] offset:192
	v_lshlrev_b32_e32 v1, 3, v100
	v_add_nc_u32_e32 v11, 0x3000, v70
	v_add_nc_u32_e32 v9, 0x3c00, v70
	;; [unrolled: 1-line block ×3, first 2 shown]
	ds_read_b64 v[56:57], v70
	global_load_dwordx2 v[54:55], v1, s[16:17] offset:192
	v_add_nc_u32_e32 v1, 0x4200, v70
	ds_read2_b64 v[15:18], v11 offset0:32 offset1:228
	ds_read2_b32 v[58:59], v9 offset0:80 offset1:81
	ds_read2_b64 v[19:22], v1 offset0:44 offset1:240
	ds_read2_b64 v[23:26], v23 offset0:52 offset1:248
	v_mov_b32_e32 v10, 3
	v_mul_i32_i24_e32 v14, 0x70, v65
	v_subrev_nc_u32_e32 v5, 56, v60
	v_mov_b32_e32 v2, 0
	v_subrev_nc_u32_e32 v3, 42, v60
	v_lshrrev_b16 v31, 3, v62
	v_lshlrev_b32_sdwa v50, v10, v50 dst_sel:DWORD dst_unused:UNUSED_PAD src0_sel:DWORD src1_sel:WORD_0
	v_cmp_gt_u32_e64 s0, 0x310, v0
	v_cmp_gt_u32_e64 s1, 0x24c, v0
	v_mul_u32_u24_e32 v30, 0x70, v66
	v_mov_b32_e32 v74, v2
	v_lshrrev_b16 v78, 3, v12
	v_cndmask_b32_e64 v1, v5, v60, s0
	v_cndmask_b32_e64 v73, v3, v49, s1
	v_mul_lo_u16 v79, v31, 37
	v_add3_u32 v14, 0, v14, v50
	v_lshrrev_b16 v101, 13, v13
	v_add3_u32 v13, 0, v72, v50
	v_and_b32_e32 v92, 0xffff, v92
	v_lshrrev_b16 v4, 13, v4
	v_add3_u32 v12, 0, v30, v50
	v_and_b32_e32 v72, 0xffff, v29
	v_and_b32_e32 v102, 0xffff, v27
	;; [unrolled: 1-line block ×3, first 2 shown]
	v_lshlrev_b64 v[31:32], 3, v[1:2]
	v_lshlrev_b64 v[33:34], 3, v[73:74]
	v_mul_lo_u16 v74, v78, 37
	v_lshrrev_b16 v104, 8, v79
	ds_read_b64 v[78:79], v14
	ds_read_b64 v[80:81], v13
	;; [unrolled: 1-line block ×3, first 2 shown]
	ds_read_b64 v[84:85], v70 offset:23520
	ds_read2_b64 v[27:30], v12 offset1:196
	v_lshrrev_b16 v6, 13, v6
	v_mul_lo_u16 v87, v101, 56
	v_and_b32_e32 v106, 0xffff, v86
	v_and_b32_e32 v94, 0xffff, v94
	v_mad_u32_u24 v92, v92, 56, v98
	v_mul_lo_u16 v88, v4, 56
	v_mul_lo_u16 v89, v6, 56
	v_add_nc_u32_e32 v105, 0xc00, v12
	v_add_co_u32 v86, s2, s16, v31
	v_sub_nc_u16 v107, v66, v87
	v_add_co_ci_u32_e64 v87, s2, s17, v32, s2
	v_mad_u32_u24 v97, v106, 56, v97
	v_mad_u32_u24 v94, v94, 56, v99
	v_sub_nc_u16 v108, v64, v88
	v_add_co_u32 v88, s2, s16, v33
	v_sub_nc_u16 v109, v63, v89
	v_add_co_ci_u32_e64 v89, s2, s17, v34, s2
	ds_read2_b64 v[31:34], v105 offset0:8 offset1:204
	v_and_b32_e32 v8, 0xffff, v8
	v_mul_u32_u24_e32 v97, 0x70, v97
	v_lshrrev_b16 v74, 8, v74
	v_subrev_nc_u32_e32 v7, 28, v60
	v_cmp_gt_u32_e32 vcc_lo, 0x188, v0
	v_mad_u32_u24 v8, v8, 56, v90
	v_mad_u32_u24 v90, v102, 56, v91
	v_and_b32_e32 v91, 0xffff, v95
	v_mul_lo_u16 v95, v74, 56
	v_cndmask_b32_e32 v75, v7, v53, vcc_lo
	v_mul_u32_u24_e32 v8, 0x70, v8
	v_mov_b32_e32 v76, v2
	v_mad_u32_u24 v91, v91, 56, v100
	v_sub_nc_u16 v95, v65, v95
	v_mul_lo_u16 v110, v104, 56
	v_add3_u32 v8, 0, v8, v50
	v_mad_u32_u24 v72, v72, 56, v96
	v_mad_u32_u24 v93, v103, 56, v93
	v_mul_u32_u24_e32 v92, 0x70, v92
	v_lshlrev_b64 v[76:77], 3, v[75:76]
	s_waitcnt vmcnt(0) lgkmcnt(0)
	s_barrier
	buffer_gl0_inv
	v_mul_u32_u24_e32 v91, 0x70, v91
	v_and_b32_e32 v96, 0xff, v107
	v_and_b32_e32 v95, 0xff, v95
	v_sub_nc_u16 v107, v62, v110
	v_mul_u32_u24_e32 v72, 0x70, v72
	v_mul_u32_u24_e32 v90, 0x70, v90
	;; [unrolled: 1-line block ×3, first 2 shown]
	v_add3_u32 v92, 0, v92, v50
	v_add_co_u32 v76, s2, s16, v76
	v_add3_u32 v91, 0, v91, v50
	v_and_b32_e32 v102, 0xff, v108
	v_add_co_ci_u32_e64 v77, s2, s17, v77, s2
	v_and_b32_e32 v103, 0xff, v109
	v_lshlrev_b32_e32 v106, 3, v96
	v_add3_u32 v72, 0, v72, v50
	v_add3_u32 v90, 0, v90, v50
	;; [unrolled: 1-line block ×3, first 2 shown]
	v_cmp_lt_u32_e64 s3, 0x24b, v0
	v_cmp_lt_u32_e64 s2, 0x30f, v0
	v_and_b32_e32 v4, 0xffff, v4
	v_and_b32_e32 v6, 0xffff, v6
	v_mad_u32_u24 v4, 0x70, v4, v102
	v_mad_u32_u24 v6, 0x70, v6, v103
	v_mul_u32_u24_e32 v4, 0x70, v4
	v_mul_u32_u24_e32 v6, 0x70, v6
	v_add3_u32 v4, 0, v4, v50
	v_add3_u32 v6, 0, v6, v50
	v_mul_f32_e32 v98, v24, v36
	v_mul_f32_e32 v36, v23, v36
	;; [unrolled: 1-line block ×3, first 2 shown]
	v_fma_f32 v23, v23, v35, -v98
	v_fmac_f32_e32 v36, v24, v35
	v_mul_f32_e32 v24, v25, v38
	v_mul_u32_u24_e32 v35, 0x70, v94
	v_add3_u32 v94, 0, v97, v50
	v_fma_f32 v25, v25, v37, -v99
	v_mul_f32_e32 v38, v40, v16
	v_fmac_f32_e32 v24, v26, v37
	v_mul_f32_e32 v26, v40, v15
	v_add3_u32 v97, 0, v35, v50
	v_fma_f32 v15, v39, v15, -v38
	v_sub_f32_e32 v24, v32, v24
	v_fmac_f32_e32 v26, v39, v16
	v_sub_f32_e32 v15, v56, v15
	v_mul_f32_e32 v37, v85, v42
	v_mul_f32_e32 v16, v22, v44
	;; [unrolled: 1-line block ×4, first 2 shown]
	v_fma_f32 v37, v84, v41, -v37
	v_fma_f32 v44, v21, v43, -v16
	v_mul_f32_e32 v39, v46, v18
	v_mul_f32_e32 v40, v46, v17
	v_fmac_f32_e32 v35, v22, v43
	v_fmac_f32_e32 v38, v85, v41
	v_sub_f32_e32 v22, v30, v36
	v_mul_f32_e32 v42, v20, v48
	v_mul_f32_e32 v43, v19, v48
	;; [unrolled: 1-line block ×4, first 2 shown]
	v_sub_f32_e32 v16, v57, v26
	v_fma_f32 v39, v45, v17, -v39
	v_fmac_f32_e32 v40, v45, v18
	v_sub_f32_e32 v17, v27, v44
	v_sub_f32_e32 v18, v28, v35
	v_fma_f32 v35, v54, v58, -v41
	v_fmac_f32_e32 v36, v59, v54
	v_sub_f32_e32 v21, v29, v23
	v_sub_f32_e32 v23, v31, v25
	v_fma_f32 v42, v19, v47, -v42
	v_fmac_f32_e32 v43, v20, v47
	v_fma_f32 v19, v56, 2.0, -v15
	v_fma_f32 v20, v57, 2.0, -v16
	ds_write_b64 v8, v[15:16] offset:3136
	v_fma_f32 v15, v27, 2.0, -v17
	v_fma_f32 v16, v28, 2.0, -v18
	v_sub_f32_e32 v27, v82, v39
	v_sub_f32_e32 v28, v83, v40
	;; [unrolled: 1-line block ×4, first 2 shown]
	v_fma_f32 v25, v29, 2.0, -v21
	v_fma_f32 v26, v30, 2.0, -v22
	;; [unrolled: 1-line block ×4, first 2 shown]
	v_sub_f32_e32 v31, v33, v37
	v_sub_f32_e32 v32, v34, v38
	;; [unrolled: 1-line block ×4, first 2 shown]
	ds_write_b64 v8, v[19:20]
	v_fma_f32 v19, v82, 2.0, -v27
	v_fma_f32 v20, v83, 2.0, -v28
	v_fma_f32 v39, v80, 2.0, -v35
	v_fma_f32 v40, v81, 2.0, -v36
	v_fma_f32 v41, v78, 2.0, -v37
	v_fma_f32 v42, v79, 2.0, -v38
	v_lshlrev_b32_e32 v8, 3, v95
	v_fma_f32 v33, v33, 2.0, -v31
	v_fma_f32 v34, v34, 2.0, -v32
	ds_write_b64 v92, v[27:28] offset:3136
	ds_write_b64 v92, v[19:20]
	ds_write_b64 v91, v[39:40]
	ds_write_b64 v91, v[35:36] offset:3136
	ds_write_b64 v97, v[41:42]
	ds_write_b64 v97, v[37:38] offset:3136
	;; [unrolled: 2-line block ×6, first 2 shown]
	v_and_b32_e32 v16, 0xff, v107
	v_lshlrev_b32_e32 v15, 3, v102
	s_waitcnt lgkmcnt(0)
	s_barrier
	buffer_gl0_inv
	s_clause 0x3
	global_load_dwordx2 v[40:41], v[86:87], off offset:416
	global_load_dwordx2 v[44:45], v[76:77], off offset:416
	global_load_dwordx2 v[54:55], v106, s[16:17] offset:416
	global_load_dwordx2 v[46:47], v8, s[16:17] offset:416
	v_lshlrev_b32_e32 v8, 3, v103
	global_load_dwordx2 v[42:43], v[88:89], off offset:416
	v_lshlrev_b32_e32 v17, 3, v16
	s_clause 0x2
	global_load_dwordx2 v[56:57], v15, s[16:17] offset:416
	global_load_dwordx2 v[58:59], v8, s[16:17] offset:416
	;; [unrolled: 1-line block ×3, first 2 shown]
	v_cndmask_b32_e64 v18, 0, 0x70, s3
	v_cmp_lt_u32_e64 s3, 0x187, v0
	v_cndmask_b32_e64 v17, 0, 0x70, s2
	v_and_b32_e32 v20, 0xffff, v104
	v_cmp_gt_u64_e64 s2, s[14:15], v[51:52]
	v_add_nc_u32_e32 v8, 0x4800, v70
	v_cndmask_b32_e64 v19, 0, 0x70, s3
	v_add_nc_u32_e32 v1, v1, v17
	v_add_nc_u32_e32 v17, v73, v18
	v_mad_u32_u24 v20, 0x70, v20, v16
	v_add_nc_u32_e32 v15, 0x5400, v70
	v_add_nc_u32_e32 v18, v75, v19
	v_and_b32_e32 v19, 0xffff, v101
	v_mul_i32_i24_e32 v17, 0x70, v17
	v_mul_u32_u24_e32 v24, 0x70, v20
	v_mul_i32_i24_e32 v1, 0x70, v1
	v_mul_i32_i24_e32 v18, 0x70, v18
	s_or_b32 s2, s18, s2
	v_add3_u32 v48, 0, v17, v50
	v_mad_u32_u24 v17, 0x70, v19, v96
	v_add3_u32 v83, 0, v24, v50
	v_add3_u32 v52, 0, v18, v50
	v_and_b32_e32 v18, 0xffff, v74
	ds_read2_b64 v[24:27], v8 offset0:48 offset1:244
	v_mul_u32_u24_e32 v21, 0x70, v17
	v_add3_u32 v1, 0, v1, v50
	v_mad_u32_u24 v22, 0x70, v18, v95
	ds_read2_b64 v[16:19], v11 offset0:32 offset1:228
	v_add3_u32 v82, 0, v21, v50
	v_mul_u32_u24_e32 v28, 0x70, v22
	ds_read2_b64 v[20:23], v9 offset0:40 offset1:236
	v_add3_u32 v50, 0, v28, v50
	ds_read2_b64 v[28:31], v15 offset0:56 offset1:252
	ds_read_b64 v[72:73], v70
	ds_read_b64 v[74:75], v71
	;; [unrolled: 1-line block ×4, first 2 shown]
	ds_read2_b64 v[32:35], v12 offset1:196
	ds_read2_b64 v[36:39], v105 offset0:8 offset1:204
	s_waitcnt vmcnt(0) lgkmcnt(0)
	s_barrier
	buffer_gl0_inv
	v_mul_f32_e32 v84, v41, v17
	v_mul_f32_e32 v41, v41, v16
	;; [unrolled: 1-line block ×16, first 2 shown]
	v_fma_f32 v16, v40, v16, -v84
	v_fmac_f32_e32 v41, v40, v17
	v_fma_f32 v18, v42, v18, -v85
	v_fmac_f32_e32 v43, v42, v19
	;; [unrolled: 2-line block ×8, first 2 shown]
	v_sub_f32_e32 v16, v72, v16
	v_sub_f32_e32 v17, v73, v41
	v_sub_f32_e32 v18, v74, v18
	v_sub_f32_e32 v19, v75, v43
	v_sub_f32_e32 v20, v78, v20
	v_sub_f32_e32 v21, v79, v45
	v_sub_f32_e32 v22, v80, v22
	v_sub_f32_e32 v23, v81, v47
	v_sub_f32_e32 v24, v32, v24
	v_sub_f32_e32 v25, v33, v55
	v_sub_f32_e32 v26, v34, v26
	v_sub_f32_e32 v27, v35, v57
	v_sub_f32_e32 v28, v36, v28
	v_sub_f32_e32 v29, v37, v59
	v_sub_f32_e32 v30, v38, v30
	v_sub_f32_e32 v31, v39, v77
	v_fma_f32 v40, v72, 2.0, -v16
	v_fma_f32 v41, v73, 2.0, -v17
	;; [unrolled: 1-line block ×16, first 2 shown]
	ds_write_b64 v1, v[16:17] offset:6272
	ds_write_b64 v1, v[40:41]
	ds_write_b64 v48, v[42:43]
	ds_write_b64 v48, v[18:19] offset:6272
	ds_write_b64 v52, v[44:45]
	ds_write_b64 v52, v[20:21] offset:6272
	;; [unrolled: 2-line block ×7, first 2 shown]
	s_waitcnt lgkmcnt(0)
	s_barrier
	buffer_gl0_inv
	s_and_saveexec_b32 s3, s2
	s_cbranch_execz .LBB0_21
; %bb.20:
	v_cndmask_b32_e64 v3, v3, v64, s1
	v_mov_b32_e32 v4, v2
	v_cndmask_b32_e64 v5, v5, v66, s0
	v_mov_b32_e32 v6, v2
	v_mov_b32_e32 v50, v2
	v_lshlrev_b32_e32 v1, 3, v60
	v_lshlrev_b64 v[16:17], 3, v[3:4]
	v_mul_lo_u32 v4, v51, v53
	v_lshlrev_b64 v[18:19], 3, v[5:6]
	v_mul_lo_u32 v6, v51, v68
	global_load_dwordx2 v[28:29], v1, s[16:17] offset:864
	v_mul_lo_u32 v1, v51, v67
	v_add_co_u32 v16, s0, s16, v16
	v_add_co_ci_u32_e64 v17, s0, s17, v17, s0
	v_add_co_u32 v18, s0, s16, v18
	v_add_co_ci_u32_e64 v19, s0, s17, v19, s0
	global_load_dwordx2 v[24:25], v[16:17], off offset:864
	v_mov_b32_e32 v54, v2
	global_load_dwordx2 v[26:27], v[18:19], off offset:864
	v_lshlrev_b64 v[16:17], 3, v[49:50]
	v_bfe_u32 v18, v6, 8, 8
	v_add_nc_u32_e32 v50, 0x70, v3
	v_add_co_u32 v16, s0, s16, v16
	v_add_co_ci_u32_e64 v17, s0, s17, v17, s0
	s_load_dwordx2 s[0:1], s[4:5], 0x8
	global_load_dwordx2 v[30:31], v[16:17], off offset:864
	v_bfe_u32 v16, v1, 8, 8
	v_bfe_u32 v17, v4, 8, 8
	v_lshlrev_b32_sdwa v1, v10, v1 dst_sel:DWORD dst_unused:UNUSED_PAD src0_sel:DWORD src1_sel:BYTE_0
	v_lshlrev_b32_sdwa v4, v10, v4 dst_sel:DWORD dst_unused:UNUSED_PAD src0_sel:DWORD src1_sel:BYTE_0
	v_lshl_or_b32 v16, v16, 3, 0x800
	v_lshl_or_b32 v17, v17, 3, 0x800
	s_waitcnt lgkmcnt(0)
	s_clause 0x1
	global_load_dwordx2 v[32:33], v1, s[0:1]
	global_load_dwordx2 v[34:35], v16, s[0:1]
	v_lshlrev_b32_sdwa v1, v10, v6 dst_sel:DWORD dst_unused:UNUSED_PAD src0_sel:DWORD src1_sel:BYTE_0
	v_lshl_or_b32 v6, v18, 3, 0x800
	s_clause 0x3
	global_load_dwordx2 v[36:37], v4, s[0:1]
	global_load_dwordx2 v[38:39], v17, s[0:1]
	;; [unrolled: 1-line block ×4, first 2 shown]
	v_mul_lo_u32 v1, v51, v49
	v_cndmask_b32_e32 v6, v7, v63, vcc_lo
	v_mov_b32_e32 v7, v2
	v_cmp_gt_u32_e32 vcc_lo, 0xc4, v0
	v_mul_lo_u32 v48, v51, v6
	v_lshlrev_b64 v[16:17], 3, v[6:7]
	v_bfe_u32 v4, v1, 8, 8
	v_lshlrev_b32_sdwa v1, v10, v1 dst_sel:DWORD dst_unused:UNUSED_PAD src0_sel:DWORD src1_sel:BYTE_0
	v_lshl_or_b32 v4, v4, 3, 0x800
	s_clause 0x1
	global_load_dwordx2 v[44:45], v1, s[0:1]
	global_load_dwordx2 v[46:47], v4, s[0:1]
	v_add_nc_u32_e32 v1, -14, v60
	v_add_nc_u32_e32 v4, 0xffffffba, v60
	v_cndmask_b32_e32 v1, v1, v62, vcc_lo
	v_add_co_u32 v20, vcc_lo, s16, v16
	v_add_co_ci_u32_e32 v21, vcc_lo, s17, v17, vcc_lo
	v_lshlrev_b64 v[22:23], 3, v[1:2]
	ds_read2_b64 v[16:19], v8 offset0:48 offset1:244
	v_mov_b32_e32 v8, v2
	global_load_dwordx2 v[55:56], v[20:21], off offset:864
	v_mul_lo_u32 v2, v51, v69
	v_add_co_u32 v20, vcc_lo, s16, v22
	v_add_co_ci_u32_e32 v21, vcc_lo, s17, v23, vcc_lo
	v_cmp_gt_u32_e32 vcc_lo, 0x3d4, v0
	v_mul_lo_u32 v22, v51, v60
	v_add_nc_u32_e32 v23, 0x70, v6
	global_load_dwordx2 v[57:58], v[20:21], off offset:864
	v_lshlrev_b64 v[20:21], 3, v[53:54]
	v_cndmask_b32_e32 v7, v4, v65, vcc_lo
	v_bfe_u32 v0, v2, 8, 8
	v_mul_lo_u32 v54, v51, v23
	v_lshlrev_b32_sdwa v2, v10, v2 dst_sel:DWORD dst_unused:UNUSED_PAD src0_sel:DWORD src1_sel:BYTE_0
	v_bfe_u32 v4, v22, 8, 8
	v_lshlrev_b32_sdwa v52, v10, v22 dst_sel:DWORD dst_unused:UNUSED_PAD src0_sel:DWORD src1_sel:BYTE_0
	v_lshlrev_b64 v[22:23], 3, v[7:8]
	v_add_co_u32 v20, vcc_lo, s16, v20
	v_lshl_or_b32 v0, v0, 3, 0x800
	v_add_co_ci_u32_e32 v21, vcc_lo, s17, v21, vcc_lo
	v_add_co_u32 v22, vcc_lo, s16, v22
	v_lshl_or_b32 v4, v4, 3, 0x800
	v_add_co_ci_u32_e32 v23, vcc_lo, s17, v23, vcc_lo
	s_clause 0x3
	global_load_dwordx2 v[72:73], v2, s[0:1]
	global_load_dwordx2 v[74:75], v0, s[0:1]
	;; [unrolled: 1-line block ×4, first 2 shown]
	v_bfe_u32 v2, v54, 8, 8
	v_mul_lo_u32 v4, v51, v50
	s_clause 0x1
	global_load_dwordx2 v[80:81], v[20:21], off offset:864
	global_load_dwordx2 v[82:83], v[22:23], off offset:864
	v_lshlrev_b32_sdwa v20, v10, v54 dst_sel:DWORD dst_unused:UNUSED_PAD src0_sel:DWORD src1_sel:BYTE_0
	v_lshl_or_b32 v2, v2, 3, 0x800
	v_bfe_u32 v8, v48, 8, 8
	s_clause 0x1
	global_load_dwordx2 v[84:85], v20, s[0:1]
	global_load_dwordx2 v[86:87], v2, s[0:1]
	v_bfe_u32 v2, v4, 8, 8
	v_mul_lo_u32 v0, v51, v3
	v_add_nc_u32_e32 v21, 0x70, v5
	v_lshlrev_b32_sdwa v22, v10, v48 dst_sel:DWORD dst_unused:UNUSED_PAD src0_sel:DWORD src1_sel:BYTE_0
	v_lshlrev_b32_sdwa v4, v10, v4 dst_sel:DWORD dst_unused:UNUSED_PAD src0_sel:DWORD src1_sel:BYTE_0
	v_lshl_or_b32 v8, v8, 3, 0x800
	v_lshl_or_b32 v2, v2, 3, 0x800
	v_mul_lo_u32 v48, v51, v21
	s_clause 0x3
	global_load_dwordx2 v[88:89], v22, s[0:1]
	global_load_dwordx2 v[90:91], v8, s[0:1]
	;; [unrolled: 1-line block ×4, first 2 shown]
	ds_read2_b64 v[20:23], v11 offset0:32 offset1:228
	v_bfe_u32 v8, v0, 8, 8
	v_lshlrev_b32_sdwa v0, v10, v0 dst_sel:DWORD dst_unused:UNUSED_PAD src0_sel:DWORD src1_sel:BYTE_0
	v_add_nc_u32_e32 v4, 0x70, v1
	v_mul_lo_u32 v50, v51, v5
	v_sub_nc_u32_e32 v6, v63, v6
	v_lshl_or_b32 v2, v8, 3, 0x800
	v_bfe_u32 v8, v48, 8, 8
	s_clause 0x1
	global_load_dwordx2 v[96:97], v0, s[0:1]
	global_load_dwordx2 v[98:99], v2, s[0:1]
	v_mul_lo_u32 v2, v51, v4
	v_lshlrev_b32_sdwa v4, v10, v48 dst_sel:DWORD dst_unused:UNUSED_PAD src0_sel:DWORD src1_sel:BYTE_0
	v_lshl_or_b32 v8, v8, 3, 0x800
	v_bfe_u32 v0, v50, 8, 8
	s_clause 0x1
	global_load_dwordx2 v[100:101], v4, s[0:1]
	global_load_dwordx2 v[102:103], v8, s[0:1]
	v_lshl_or_b32 v0, v0, 3, 0x800
	s_waitcnt vmcnt(29) lgkmcnt(0)
	v_mul_f32_e32 v54, v29, v20
	v_fmac_f32_e32 v54, v28, v21
	s_waitcnt vmcnt(28)
	v_mul_f32_e32 v11, v19, v25
	v_mul_f32_e32 v48, v18, v25
	s_waitcnt vmcnt(27)
	v_mul_f32_e32 v8, v17, v27
	v_mul_f32_e32 v52, v16, v27
	v_fma_f32 v4, v18, v24, -v11
	v_lshlrev_b32_sdwa v18, v10, v50 dst_sel:DWORD dst_unused:UNUSED_PAD src0_sel:DWORD src1_sel:BYTE_0
	v_fmac_f32_e32 v48, v19, v24
	v_fma_f32 v59, v16, v26, -v8
	v_mul_f32_e32 v8, v29, v21
	v_bfe_u32 v16, v2, 8, 8
	v_fmac_f32_e32 v52, v17, v26
	s_clause 0x1
	global_load_dwordx2 v[24:25], v18, s[0:1]
	global_load_dwordx2 v[26:27], v0, s[0:1]
	v_lshlrev_b32_sdwa v2, v10, v2 dst_sel:DWORD dst_unused:UNUSED_PAD src0_sel:DWORD src1_sel:BYTE_0
	v_fma_f32 v104, v28, v20, -v8
	v_lshl_or_b32 v8, v16, 3, 0x800
	v_add_nc_u32_e32 v16, 0x70, v7
	s_waitcnt vmcnt(28)
	v_mul_f32_e32 v105, v31, v22
	v_mul_f32_e32 v0, v31, v23
	v_mul_lo_u32 v11, v51, v1
	v_fmac_f32_e32 v105, v30, v23
	v_fma_f32 v23, v30, v22, -v0
	v_mul_lo_u32 v0, v51, v7
	s_clause 0x1
	global_load_dwordx2 v[19:20], v2, s[0:1]
	global_load_dwordx2 v[21:22], v8, s[0:1]
	v_mul_lo_u32 v2, v51, v16
	v_bfe_u32 v8, v11, 8, 8
	v_lshlrev_b32_sdwa v11, v10, v11 dst_sel:DWORD dst_unused:UNUSED_PAD src0_sel:DWORD src1_sel:BYTE_0
	v_bfe_u32 v16, v0, 8, 8
	v_lshlrev_b32_sdwa v0, v10, v0 dst_sel:DWORD dst_unused:UNUSED_PAD src0_sel:DWORD src1_sel:BYTE_0
	v_bfe_u32 v17, v2, 8, 8
	s_waitcnt vmcnt(28)
	v_mul_f32_e32 v18, v33, v35
	v_mul_f32_e32 v106, v32, v35
	v_lshlrev_b32_sdwa v2, v10, v2 dst_sel:DWORD dst_unused:UNUSED_PAD src0_sel:DWORD src1_sel:BYTE_0
	v_lshl_or_b32 v10, v16, 3, 0x800
	s_waitcnt vmcnt(26)
	v_mul_f32_e32 v16, v37, v39
	v_mul_f32_e32 v108, v36, v39
	v_lshl_or_b32 v8, v8, 3, 0x800
	v_lshl_or_b32 v17, v17, 3, 0x800
	v_fma_f32 v107, v32, v34, -v18
	v_fmac_f32_e32 v106, v33, v34
	v_fma_f32 v110, v36, v38, -v16
	v_fmac_f32_e32 v108, v37, v38
	s_clause 0x5
	global_load_dwordx2 v[28:29], v11, s[0:1]
	global_load_dwordx2 v[30:31], v8, s[0:1]
	;; [unrolled: 1-line block ×6, first 2 shown]
	s_waitcnt vmcnt(30)
	v_mul_f32_e32 v18, v41, v43
	ds_read2_b64 v[8:11], v9 offset0:40 offset1:236
	v_mul_f32_e32 v109, v40, v43
	s_lshl_b64 s[0:1], s[6:7], 3
	v_fma_f32 v111, v40, v42, -v18
	ds_read2_b64 v[15:18], v15 offset0:56 offset1:252
	s_waitcnt vmcnt(28)
	v_mul_f32_e32 v0, v45, v47
	v_mul_f32_e32 v112, v44, v47
	v_fmac_f32_e32 v109, v41, v42
	v_mad_u64_u32 v[42:43], null, s8, v60, 0
	v_fma_f32 v113, v44, v46, -v0
	v_fmac_f32_e32 v112, v45, v46
	v_add_nc_u32_e32 v46, 0xc40, v12
	s_add_u32 s0, s10, s0
	s_addc_u32 s1, s11, s1
	s_waitcnt vmcnt(27) lgkmcnt(0)
	v_mul_f32_e32 v0, v16, v56
	v_mul_f32_e32 v114, v15, v56
	s_waitcnt vmcnt(26)
	v_mul_f32_e32 v115, v17, v58
	v_fma_f32 v56, v15, v55, -v0
	v_mul_f32_e32 v0, v18, v58
	v_fmac_f32_e32 v114, v16, v55
	ds_read_b64 v[14:15], v14
	v_fmac_f32_e32 v115, v18, v57
	v_fma_f32 v57, v17, v57, -v0
	s_waitcnt vmcnt(24)
	v_mul_f32_e32 v0, v73, v75
	v_mul_f32_e32 v58, v72, v75
	s_waitcnt vmcnt(22)
	v_mul_f32_e32 v2, v77, v79
	v_fma_f32 v72, v72, v74, -v0
	v_fmac_f32_e32 v58, v73, v74
	v_mul_f32_e32 v73, v76, v79
	s_waitcnt vmcnt(21)
	v_mul_f32_e32 v18, v81, v8
	v_fma_f32 v74, v76, v78, -v2
	v_mul_f32_e32 v2, v81, v9
	s_waitcnt vmcnt(20)
	v_mul_f32_e32 v75, v83, v10
	v_mul_f32_e32 v16, v83, v11
	v_fmac_f32_e32 v73, v77, v78
	v_fmac_f32_e32 v18, v80, v9
	v_fma_f32 v76, v80, v8, -v2
	v_add_nc_u32_e32 v2, 0x1260, v12
	v_fmac_f32_e32 v75, v82, v11
	v_fma_f32 v77, v82, v10, -v16
	ds_read_b64 v[8:9], v13
	ds_read_b64 v[10:11], v71
	;; [unrolled: 1-line block ×3, first 2 shown]
	v_add_nc_u32_e32 v0, 0x620, v12
	s_waitcnt vmcnt(18)
	v_mul_f32_e32 v40, v85, v87
	s_waitcnt vmcnt(16)
	v_mul_f32_e32 v13, v89, v91
	;; [unrolled: 2-line block ×3, first 2 shown]
	v_mul_f32_e32 v78, v84, v87
	v_mul_f32_e32 v70, v88, v91
	v_fma_f32 v71, v84, v86, -v40
	v_fma_f32 v80, v88, v90, -v13
	;; [unrolled: 1-line block ×3, first 2 shown]
	ds_read_b64 v[44:45], v2
	ds_read_b64 v[46:47], v46
	;; [unrolled: 1-line block ×4, first 2 shown]
	v_mad_u64_u32 v[40:41], null, s12, v61, 0
	v_fmac_f32_e32 v78, v85, v86
	v_fmac_f32_e32 v70, v89, v90
	s_waitcnt vmcnt(12)
	v_mul_f32_e32 v55, v97, v99
	v_mul_f32_e32 v79, v92, v95
	s_waitcnt lgkmcnt(7)
	v_sub_f32_e32 v75, v15, v75
	v_sub_f32_e32 v77, v14, v77
	v_mov_b32_e32 v0, v41
	v_fma_f32 v83, v96, v98, -v55
	s_waitcnt lgkmcnt(4)
	v_sub_f32_e32 v41, v17, v54
	s_waitcnt vmcnt(10)
	v_mul_f32_e32 v2, v101, v103
	v_sub_f32_e32 v85, v16, v104
	v_mad_u64_u32 v[54:55], null, s13, v61, v[0:1]
	v_sub_f32_e32 v61, v11, v105
	v_fma_f32 v86, v100, v102, -v2
	v_mov_b32_e32 v2, v43
	v_sub_f32_e32 v43, v9, v18
	v_sub_f32_e32 v23, v10, v23
	v_fma_f32 v0, v17, 2.0, -v41
	v_fma_f32 v17, v16, 2.0, -v85
	v_sub_f32_e32 v55, v8, v76
	s_waitcnt lgkmcnt(0)
	v_sub_f32_e32 v59, v12, v59
	v_fma_f32 v90, v10, 2.0, -v23
	v_mul_f32_e32 v10, v61, v109
	v_mul_f32_e32 v84, v100, v103
	v_sub_f32_e32 v76, v47, v114
	v_sub_f32_e32 v52, v13, v52
	v_fma_f32 v89, v11, 2.0, -v61
	v_mul_f32_e32 v11, v23, v109
	v_fma_f32 v92, v12, 2.0, -v59
	v_fma_f32 v10, v23, v111, -v10
	v_fmac_f32_e32 v79, v93, v94
	v_fmac_f32_e32 v84, v101, v102
	v_sub_f32_e32 v56, v46, v56
	v_fma_f32 v47, v47, 2.0, -v76
	v_sub_f32_e32 v57, v44, v57
	v_fma_f32 v91, v13, 2.0, -v52
	v_fma_f32 v15, v15, 2.0, -v75
	;; [unrolled: 1-line block ×3, first 2 shown]
	v_mul_f32_e32 v81, v96, v99
	v_fma_f32 v46, v46, 2.0, -v56
	v_fmac_f32_e32 v11, v61, v111
	v_fma_f32 v44, v44, 2.0, -v57
	v_sub_f32_e32 v48, v51, v48
	v_sub_f32_e32 v4, v50, v4
	v_fmac_f32_e32 v81, v97, v98
	v_mul_f32_e32 v94, v89, v112
	v_fma_f32 v51, v51, 2.0, -v48
	v_fma_f32 v50, v50, 2.0, -v4
	s_waitcnt vmcnt(8)
	v_mul_f32_e32 v16, v25, v27
	v_mul_f32_e32 v27, v24, v27
	v_fma_f32 v87, v24, v26, -v16
	v_fmac_f32_e32 v27, v25, v26
	v_fma_f32 v25, v8, 2.0, -v55
	v_mul_f32_e32 v16, v85, v58
	v_mul_f32_e32 v24, v46, v70
	;; [unrolled: 1-line block ×4, first 2 shown]
	s_waitcnt vmcnt(6)
	v_mul_f32_e32 v88, v19, v22
	v_mul_f32_e32 v18, v20, v22
	v_fmac_f32_e32 v24, v47, v80
	v_fmac_f32_e32 v16, v41, v72
	;; [unrolled: 1-line block ×4, first 2 shown]
	v_mul_f32_e32 v20, v43, v106
	v_fma_f32 v19, v19, v21, -v18
	v_fma_f32 v21, v9, 2.0, -v43
	v_mul_f32_e32 v9, v55, v106
	v_mul_f32_e32 v18, v17, v73
	v_fma_f32 v8, v55, v107, -v20
	v_sub_f32_e32 v55, v45, v115
	v_fmac_f32_e32 v13, v21, v110
	v_fmac_f32_e32 v9, v43, v107
	v_mul_f32_e32 v43, v21, v108
	v_fmac_f32_e32 v18, v0, v74
	v_fma_f32 v93, v45, 2.0, -v55
	v_mul_f32_e32 v0, v0, v73
	v_mul_f32_e32 v20, v90, v112
	s_waitcnt vmcnt(4)
	v_mul_f32_e32 v12, v29, v31
	v_mul_f32_e32 v31, v28, v31
	s_waitcnt vmcnt(0)
	v_mul_f32_e32 v23, v37, v39
	v_mul_f32_e32 v39, v36, v39
	;; [unrolled: 1-line block ×4, first 2 shown]
	v_fmac_f32_e32 v31, v29, v30
	v_fma_f32 v61, v28, v30, -v12
	v_fmac_f32_e32 v39, v37, v38
	v_fma_f32 v96, v36, v38, -v23
	v_fmac_f32_e32 v35, v33, v34
	v_mul_f32_e32 v23, v76, v78
	v_mul_f32_e32 v29, v47, v70
	v_fma_f32 v12, v25, v110, -v43
	v_mul_f32_e32 v36, v52, v84
	v_mul_f32_e32 v37, v91, v27
	;; [unrolled: 1-line block ×5, first 2 shown]
	v_fma_f32 v21, v56, v71, -v23
	v_fma_f32 v23, v46, v80, -v29
	;; [unrolled: 1-line block ×3, first 2 shown]
	v_mul_f32_e32 v36, v44, v31
	v_fma_f32 v31, v92, v87, -v37
	v_mul_f32_e32 v38, v77, v35
	v_mul_f32_e32 v37, v75, v35
	v_fma_f32 v35, v44, v61, -v43
	v_fmac_f32_e32 v45, v15, v96
	v_fma_f32 v44, v14, v96, -v39
	v_mad_u64_u32 v[14:15], null, s9, v60, v[2:3]
	v_mul_f32_e32 v2, v41, v58
	v_mov_b32_e32 v41, v54
	v_mad_u64_u32 v[46:47], null, s8, v69, 0
	v_fma_f32 v95, v32, v34, -v22
	v_mul_f32_e32 v34, v51, v81
	v_mov_b32_e32 v43, v14
	v_lshlrev_b64 v[14:15], 3, v[40:41]
	v_mul_f32_e32 v28, v50, v81
	v_fma_f32 v17, v17, v74, -v0
	v_mov_b32_e32 v0, v47
	v_lshlrev_b64 v[39:40], 3, v[42:43]
	v_mad_u64_u32 v[41:42], null, s8, v49, 0
	v_mul_f32_e32 v32, v92, v27
	v_fma_f32 v27, v50, v83, -v34
	v_add_co_u32 v50, vcc_lo, s0, v14
	v_fmac_f32_e32 v28, v51, v83
	v_add_co_ci_u32_e32 v51, vcc_lo, s1, v15, vcc_lo
	v_mad_u64_u32 v[14:15], null, s9, v69, v[0:1]
	v_mov_b32_e32 v0, v42
	v_mul_f32_e32 v33, v48, v79
	v_add_co_u32 v39, vcc_lo, v50, v39
	v_add_co_ci_u32_e32 v40, vcc_lo, v51, v40, vcc_lo
	v_mad_u64_u32 v[42:43], null, s9, v49, v[0:1]
	v_mad_u64_u32 v[48:49], null, s8, v68, 0
	v_mov_b32_e32 v47, v14
	global_store_dwordx2 v[39:40], v[17:18], off
	v_mad_u64_u32 v[39:40], null, s8, v53, 0
	v_lshlrev_b64 v[41:42], 3, v[41:42]
	v_lshlrev_b64 v[17:18], 3, v[46:47]
	v_mov_b32_e32 v0, v49
	v_fma_f32 v25, v4, v82, -v33
	v_mul_f32_e32 v34, v57, v88
	v_mul_f32_e32 v4, v55, v88
	v_fma_f32 v15, v85, v72, -v2
	v_mad_u64_u32 v[46:47], null, s9, v68, v[0:1]
	v_add_co_u32 v17, vcc_lo, v50, v17
	v_mov_b32_e32 v0, v40
	v_add_co_ci_u32_e32 v18, vcc_lo, v51, v18, vcc_lo
	v_add_co_u32 v40, vcc_lo, v50, v41
	v_mov_b32_e32 v49, v46
	v_mad_u64_u32 v[46:47], null, s8, v67, 0
	v_add_co_ci_u32_e32 v41, vcc_lo, v51, v42, vcc_lo
	v_mad_u64_u32 v[42:43], null, s9, v53, v[0:1]
	v_sub_nc_u32_e32 v2, v65, v7
	v_fmac_f32_e32 v34, v55, v19
	v_fma_f32 v33, v57, v19, -v4
	v_fmac_f32_e32 v20, v89, v113
	v_fma_f32 v19, v90, v113, -v94
	v_mov_b32_e32 v0, v47
	global_store_dwordx2 v[17:18], v[15:16], off
	global_store_dwordx2 v[40:41], v[19:20], off
	v_mov_b32_e32 v40, v42
	v_add_nc_u32_e32 v2, v2, v65
	v_lshlrev_b64 v[14:15], 3, v[48:49]
	v_mad_u64_u32 v[18:19], null, s9, v67, v[0:1]
	v_lshlrev_b64 v[16:17], 3, v[39:40]
	v_mad_u64_u32 v[19:20], null, s8, v2, 0
	v_add_nc_u32_e32 v7, 0x70, v2
	v_add_co_u32 v14, vcc_lo, v50, v14
	v_add_co_ci_u32_e32 v15, vcc_lo, v51, v15, vcc_lo
	v_mov_b32_e32 v47, v18
	v_mad_u64_u32 v[39:40], null, s8, v7, 0
	v_add_co_u32 v16, vcc_lo, v50, v16
	v_add_co_ci_u32_e32 v17, vcc_lo, v51, v17, vcc_lo
	v_mov_b32_e32 v0, v20
	global_store_dwordx2 v[14:15], v[10:11], off
	v_lshlrev_b64 v[10:11], 3, v[46:47]
	global_store_dwordx2 v[16:17], v[12:13], off
	v_fmac_f32_e32 v38, v75, v95
	v_mad_u64_u32 v[12:13], null, s9, v2, v[0:1]
	v_mov_b32_e32 v0, v40
	v_sub_nc_u32_e32 v2, v66, v5
	v_add_co_u32 v4, vcc_lo, v50, v10
	v_add_co_ci_u32_e32 v5, vcc_lo, v51, v11, vcc_lo
	v_mad_u64_u32 v[10:11], null, s9, v7, v[0:1]
	v_add_nc_u32_e32 v11, v2, v66
	v_mov_b32_e32 v20, v12
	global_store_dwordx2 v[4:5], v[8:9], off
	v_sub_nc_u32_e32 v13, v64, v3
	v_fma_f32 v37, v77, v95, -v37
	v_add_nc_u32_e32 v12, 0x70, v11
	v_mad_u64_u32 v[7:8], null, s8, v11, 0
	v_mov_b32_e32 v40, v10
	v_lshlrev_b64 v[4:5], 3, v[19:20]
	v_mad_u64_u32 v[9:10], null, s8, v12, 0
	v_add_nc_u32_e32 v14, v13, v64
	v_fmac_f32_e32 v32, v91, v87
	v_mov_b32_e32 v0, v8
	v_add_co_u32 v2, vcc_lo, v50, v4
	v_add_co_ci_u32_e32 v3, vcc_lo, v51, v5, vcc_lo
	v_mov_b32_e32 v8, v10
	v_mad_u64_u32 v[10:11], null, s9, v11, v[0:1]
	v_lshlrev_b64 v[4:5], 3, v[39:40]
	global_store_dwordx2 v[2:3], v[44:45], off
	v_mad_u64_u32 v[11:12], null, s9, v12, v[8:9]
	v_mad_u64_u32 v[12:13], null, s8, v14, 0
	v_add_co_u32 v4, vcc_lo, v50, v4
	v_add_co_ci_u32_e32 v5, vcc_lo, v51, v5, vcc_lo
	v_mov_b32_e32 v8, v10
	v_mov_b32_e32 v10, v11
	;; [unrolled: 1-line block ×3, first 2 shown]
	global_store_dwordx2 v[4:5], v[37:38], off
	v_mul_f32_e32 v30, v59, v84
	v_lshlrev_b64 v[2:3], 3, v[7:8]
	v_lshlrev_b64 v[7:8], 3, v[9:10]
	v_mad_u64_u32 v[4:5], null, s9, v14, v[0:1]
	v_add_nc_u32_e32 v9, 0x70, v14
	v_fmac_f32_e32 v30, v52, v86
	v_add_co_u32 v2, vcc_lo, v50, v2
	v_add_co_ci_u32_e32 v3, vcc_lo, v51, v3, vcc_lo
	v_mov_b32_e32 v13, v4
	v_mad_u64_u32 v[4:5], null, s8, v9, 0
	v_add_co_u32 v7, vcc_lo, v50, v7
	global_store_dwordx2 v[2:3], v[31:32], off
	v_lshlrev_b64 v[2:3], 3, v[12:13]
	v_add_co_ci_u32_e32 v8, vcc_lo, v51, v8, vcc_lo
	v_mov_b32_e32 v0, v5
	v_add_nc_u32_e32 v10, v6, v63
	v_mul_f32_e32 v22, v56, v78
	global_store_dwordx2 v[7:8], v[29:30], off
	v_add_co_u32 v2, vcc_lo, v50, v2
	v_mad_u64_u32 v[5:6], null, s9, v9, v[0:1]
	v_mad_u64_u32 v[6:7], null, s8, v10, 0
	v_add_co_ci_u32_e32 v3, vcc_lo, v51, v3, vcc_lo
	v_sub_nc_u32_e32 v8, v62, v1
	v_add_nc_u32_e32 v12, 0x70, v10
	v_fmac_f32_e32 v22, v76, v71
	global_store_dwordx2 v[2:3], v[27:28], off
	v_lshlrev_b64 v[3:4], 3, v[4:5]
	v_add_nc_u32_e32 v13, v8, v62
	v_mov_b32_e32 v2, v7
	v_mad_u64_u32 v[0:1], null, s8, v12, 0
	v_fmac_f32_e32 v36, v93, v61
	v_mad_u64_u32 v[8:9], null, s8, v13, 0
	v_mad_u64_u32 v[10:11], null, s9, v10, v[2:3]
	v_add_nc_u32_e32 v5, 0x70, v13
	v_mad_u64_u32 v[1:2], null, s9, v12, v[1:2]
	v_add_co_u32 v3, vcc_lo, v50, v3
	v_mad_u64_u32 v[11:12], null, s8, v5, 0
	v_mov_b32_e32 v2, v9
	v_add_co_ci_u32_e32 v4, vcc_lo, v51, v4, vcc_lo
	v_mov_b32_e32 v7, v10
	v_lshlrev_b64 v[0:1], 3, v[0:1]
	v_mad_u64_u32 v[9:10], null, s9, v13, v[2:3]
	global_store_dwordx2 v[3:4], v[25:26], off
	v_lshlrev_b64 v[3:4], 3, v[6:7]
	v_mov_b32_e32 v2, v12
	v_mad_u64_u32 v[5:6], null, s9, v5, v[2:3]
	v_add_co_u32 v2, vcc_lo, v50, v3
	v_lshlrev_b64 v[6:7], 3, v[8:9]
	v_add_co_ci_u32_e32 v3, vcc_lo, v51, v4, vcc_lo
	v_add_co_u32 v0, vcc_lo, v50, v0
	v_mov_b32_e32 v12, v5
	v_add_co_ci_u32_e32 v1, vcc_lo, v51, v1, vcc_lo
	v_add_co_u32 v6, vcc_lo, v50, v6
	v_lshlrev_b64 v[4:5], 3, v[11:12]
	v_add_co_ci_u32_e32 v7, vcc_lo, v51, v7, vcc_lo
	v_add_co_u32 v4, vcc_lo, v50, v4
	v_add_co_ci_u32_e32 v5, vcc_lo, v51, v5, vcc_lo
	global_store_dwordx2 v[2:3], v[23:24], off
	global_store_dwordx2 v[0:1], v[21:22], off
	;; [unrolled: 1-line block ×4, first 2 shown]
.LBB0_21:
	s_endpgm
	.section	.rodata,"a",@progbits
	.p2align	6, 0x0
	.amdhsa_kernel fft_rtc_fwd_len224_factors_4_7_2_2_2_wgs_196_tpt_14_dim3_sp_ip_CI_sbcc_twdbase8_2step_dirReg
		.amdhsa_group_segment_fixed_size 0
		.amdhsa_private_segment_fixed_size 0
		.amdhsa_kernarg_size 88
		.amdhsa_user_sgpr_count 6
		.amdhsa_user_sgpr_private_segment_buffer 1
		.amdhsa_user_sgpr_dispatch_ptr 0
		.amdhsa_user_sgpr_queue_ptr 0
		.amdhsa_user_sgpr_kernarg_segment_ptr 1
		.amdhsa_user_sgpr_dispatch_id 0
		.amdhsa_user_sgpr_flat_scratch_init 0
		.amdhsa_user_sgpr_private_segment_size 0
		.amdhsa_wavefront_size32 1
		.amdhsa_uses_dynamic_stack 0
		.amdhsa_system_sgpr_private_segment_wavefront_offset 0
		.amdhsa_system_sgpr_workgroup_id_x 1
		.amdhsa_system_sgpr_workgroup_id_y 0
		.amdhsa_system_sgpr_workgroup_id_z 0
		.amdhsa_system_sgpr_workgroup_info 0
		.amdhsa_system_vgpr_workitem_id 0
		.amdhsa_next_free_vgpr 116
		.amdhsa_next_free_sgpr 26
		.amdhsa_reserve_vcc 1
		.amdhsa_reserve_flat_scratch 0
		.amdhsa_float_round_mode_32 0
		.amdhsa_float_round_mode_16_64 0
		.amdhsa_float_denorm_mode_32 3
		.amdhsa_float_denorm_mode_16_64 3
		.amdhsa_dx10_clamp 1
		.amdhsa_ieee_mode 1
		.amdhsa_fp16_overflow 0
		.amdhsa_workgroup_processor_mode 1
		.amdhsa_memory_ordered 1
		.amdhsa_forward_progress 0
		.amdhsa_shared_vgpr_count 0
		.amdhsa_exception_fp_ieee_invalid_op 0
		.amdhsa_exception_fp_denorm_src 0
		.amdhsa_exception_fp_ieee_div_zero 0
		.amdhsa_exception_fp_ieee_overflow 0
		.amdhsa_exception_fp_ieee_underflow 0
		.amdhsa_exception_fp_ieee_inexact 0
		.amdhsa_exception_int_div_zero 0
	.end_amdhsa_kernel
	.text
.Lfunc_end0:
	.size	fft_rtc_fwd_len224_factors_4_7_2_2_2_wgs_196_tpt_14_dim3_sp_ip_CI_sbcc_twdbase8_2step_dirReg, .Lfunc_end0-fft_rtc_fwd_len224_factors_4_7_2_2_2_wgs_196_tpt_14_dim3_sp_ip_CI_sbcc_twdbase8_2step_dirReg
                                        ; -- End function
	.section	.AMDGPU.csdata,"",@progbits
; Kernel info:
; codeLenInByte = 12024
; NumSgprs: 28
; NumVgprs: 116
; ScratchSize: 0
; MemoryBound: 0
; FloatMode: 240
; IeeeMode: 1
; LDSByteSize: 0 bytes/workgroup (compile time only)
; SGPRBlocks: 3
; VGPRBlocks: 14
; NumSGPRsForWavesPerEU: 28
; NumVGPRsForWavesPerEU: 116
; Occupancy: 8
; WaveLimiterHint : 1
; COMPUTE_PGM_RSRC2:SCRATCH_EN: 0
; COMPUTE_PGM_RSRC2:USER_SGPR: 6
; COMPUTE_PGM_RSRC2:TRAP_HANDLER: 0
; COMPUTE_PGM_RSRC2:TGID_X_EN: 1
; COMPUTE_PGM_RSRC2:TGID_Y_EN: 0
; COMPUTE_PGM_RSRC2:TGID_Z_EN: 0
; COMPUTE_PGM_RSRC2:TIDIG_COMP_CNT: 0
	.text
	.p2alignl 6, 3214868480
	.fill 48, 4, 3214868480
	.type	__hip_cuid_f6f645de2d338336,@object ; @__hip_cuid_f6f645de2d338336
	.section	.bss,"aw",@nobits
	.globl	__hip_cuid_f6f645de2d338336
__hip_cuid_f6f645de2d338336:
	.byte	0                               ; 0x0
	.size	__hip_cuid_f6f645de2d338336, 1

	.ident	"AMD clang version 19.0.0git (https://github.com/RadeonOpenCompute/llvm-project roc-6.4.0 25133 c7fe45cf4b819c5991fe208aaa96edf142730f1d)"
	.section	".note.GNU-stack","",@progbits
	.addrsig
	.addrsig_sym __hip_cuid_f6f645de2d338336
	.amdgpu_metadata
---
amdhsa.kernels:
  - .args:
      - .actual_access:  read_only
        .address_space:  global
        .offset:         0
        .size:           8
        .value_kind:     global_buffer
      - .address_space:  global
        .offset:         8
        .size:           8
        .value_kind:     global_buffer
      - .actual_access:  read_only
        .address_space:  global
        .offset:         16
        .size:           8
        .value_kind:     global_buffer
      - .actual_access:  read_only
        .address_space:  global
        .offset:         24
        .size:           8
        .value_kind:     global_buffer
      - .offset:         32
        .size:           8
        .value_kind:     by_value
      - .actual_access:  read_only
        .address_space:  global
        .offset:         40
        .size:           8
        .value_kind:     global_buffer
      - .actual_access:  read_only
        .address_space:  global
        .offset:         48
        .size:           8
        .value_kind:     global_buffer
      - .offset:         56
        .size:           4
        .value_kind:     by_value
      - .actual_access:  read_only
        .address_space:  global
        .offset:         64
        .size:           8
        .value_kind:     global_buffer
      - .actual_access:  read_only
        .address_space:  global
        .offset:         72
        .size:           8
        .value_kind:     global_buffer
      - .address_space:  global
        .offset:         80
        .size:           8
        .value_kind:     global_buffer
    .group_segment_fixed_size: 0
    .kernarg_segment_align: 8
    .kernarg_segment_size: 88
    .language:       OpenCL C
    .language_version:
      - 2
      - 0
    .max_flat_workgroup_size: 196
    .name:           fft_rtc_fwd_len224_factors_4_7_2_2_2_wgs_196_tpt_14_dim3_sp_ip_CI_sbcc_twdbase8_2step_dirReg
    .private_segment_fixed_size: 0
    .sgpr_count:     28
    .sgpr_spill_count: 0
    .symbol:         fft_rtc_fwd_len224_factors_4_7_2_2_2_wgs_196_tpt_14_dim3_sp_ip_CI_sbcc_twdbase8_2step_dirReg.kd
    .uniform_work_group_size: 1
    .uses_dynamic_stack: false
    .vgpr_count:     116
    .vgpr_spill_count: 0
    .wavefront_size: 32
    .workgroup_processor_mode: 1
amdhsa.target:   amdgcn-amd-amdhsa--gfx1030
amdhsa.version:
  - 1
  - 2
...

	.end_amdgpu_metadata
